;; amdgpu-corpus repo=ROCm/rocFFT kind=compiled arch=gfx1100 opt=O3
	.text
	.amdgcn_target "amdgcn-amd-amdhsa--gfx1100"
	.amdhsa_code_object_version 6
	.protected	fft_rtc_back_len1224_factors_17_3_4_6_wgs_204_tpt_102_halfLds_dp_ip_CI_unitstride_sbrr_C2R_dirReg ; -- Begin function fft_rtc_back_len1224_factors_17_3_4_6_wgs_204_tpt_102_halfLds_dp_ip_CI_unitstride_sbrr_C2R_dirReg
	.globl	fft_rtc_back_len1224_factors_17_3_4_6_wgs_204_tpt_102_halfLds_dp_ip_CI_unitstride_sbrr_C2R_dirReg
	.p2align	8
	.type	fft_rtc_back_len1224_factors_17_3_4_6_wgs_204_tpt_102_halfLds_dp_ip_CI_unitstride_sbrr_C2R_dirReg,@function
fft_rtc_back_len1224_factors_17_3_4_6_wgs_204_tpt_102_halfLds_dp_ip_CI_unitstride_sbrr_C2R_dirReg: ; @fft_rtc_back_len1224_factors_17_3_4_6_wgs_204_tpt_102_halfLds_dp_ip_CI_unitstride_sbrr_C2R_dirReg
; %bb.0:
	s_clause 0x2
	s_load_b128 s[4:7], s[0:1], 0x0
	s_load_b64 s[8:9], s[0:1], 0x50
	s_load_b64 s[10:11], s[0:1], 0x18
	v_mul_u32_u24_e32 v1, 0x283, v0
	v_mov_b32_e32 v3, 0
	v_mov_b32_e32 v4, 0
	s_delay_alu instid0(VALU_DEP_3) | instskip(SKIP_1) | instid1(VALU_DEP_2)
	v_lshrrev_b32_e32 v9, 16, v1
	v_mov_b32_e32 v1, 0
	v_lshl_add_u32 v5, s15, 1, v9
	s_delay_alu instid0(VALU_DEP_2) | instskip(SKIP_2) | instid1(VALU_DEP_1)
	v_mov_b32_e32 v6, v1
	s_waitcnt lgkmcnt(0)
	v_cmp_lt_u64_e64 s2, s[6:7], 2
	s_and_b32 vcc_lo, exec_lo, s2
	s_cbranch_vccnz .LBB0_8
; %bb.1:
	s_load_b64 s[2:3], s[0:1], 0x10
	v_mov_b32_e32 v3, 0
	s_add_u32 s12, s10, 8
	v_mov_b32_e32 v4, 0
	s_addc_u32 s13, s11, 0
	s_mov_b64 s[16:17], 1
	s_waitcnt lgkmcnt(0)
	s_add_u32 s14, s2, 8
	s_addc_u32 s15, s3, 0
.LBB0_2:                                ; =>This Inner Loop Header: Depth=1
	s_load_b64 s[18:19], s[14:15], 0x0
                                        ; implicit-def: $vgpr7_vgpr8
	s_mov_b32 s2, exec_lo
	s_waitcnt lgkmcnt(0)
	v_or_b32_e32 v2, s19, v6
	s_delay_alu instid0(VALU_DEP_1)
	v_cmpx_ne_u64_e32 0, v[1:2]
	s_xor_b32 s3, exec_lo, s2
	s_cbranch_execz .LBB0_4
; %bb.3:                                ;   in Loop: Header=BB0_2 Depth=1
	v_cvt_f32_u32_e32 v2, s18
	v_cvt_f32_u32_e32 v7, s19
	s_sub_u32 s2, 0, s18
	s_subb_u32 s20, 0, s19
	s_delay_alu instid0(VALU_DEP_1) | instskip(NEXT) | instid1(VALU_DEP_1)
	v_fmac_f32_e32 v2, 0x4f800000, v7
	v_rcp_f32_e32 v2, v2
	s_waitcnt_depctr 0xfff
	v_mul_f32_e32 v2, 0x5f7ffffc, v2
	s_delay_alu instid0(VALU_DEP_1) | instskip(NEXT) | instid1(VALU_DEP_1)
	v_mul_f32_e32 v7, 0x2f800000, v2
	v_trunc_f32_e32 v7, v7
	s_delay_alu instid0(VALU_DEP_1) | instskip(SKIP_1) | instid1(VALU_DEP_2)
	v_fmac_f32_e32 v2, 0xcf800000, v7
	v_cvt_u32_f32_e32 v7, v7
	v_cvt_u32_f32_e32 v2, v2
	s_delay_alu instid0(VALU_DEP_2) | instskip(NEXT) | instid1(VALU_DEP_2)
	v_mul_lo_u32 v8, s2, v7
	v_mul_hi_u32 v10, s2, v2
	v_mul_lo_u32 v11, s20, v2
	s_delay_alu instid0(VALU_DEP_2) | instskip(SKIP_1) | instid1(VALU_DEP_2)
	v_add_nc_u32_e32 v8, v10, v8
	v_mul_lo_u32 v10, s2, v2
	v_add_nc_u32_e32 v8, v8, v11
	s_delay_alu instid0(VALU_DEP_2) | instskip(NEXT) | instid1(VALU_DEP_2)
	v_mul_hi_u32 v11, v2, v10
	v_mul_lo_u32 v12, v2, v8
	v_mul_hi_u32 v13, v2, v8
	v_mul_hi_u32 v14, v7, v10
	v_mul_lo_u32 v10, v7, v10
	v_mul_hi_u32 v15, v7, v8
	v_mul_lo_u32 v8, v7, v8
	v_add_co_u32 v11, vcc_lo, v11, v12
	v_add_co_ci_u32_e32 v12, vcc_lo, 0, v13, vcc_lo
	s_delay_alu instid0(VALU_DEP_2) | instskip(NEXT) | instid1(VALU_DEP_2)
	v_add_co_u32 v10, vcc_lo, v11, v10
	v_add_co_ci_u32_e32 v10, vcc_lo, v12, v14, vcc_lo
	v_add_co_ci_u32_e32 v11, vcc_lo, 0, v15, vcc_lo
	s_delay_alu instid0(VALU_DEP_2) | instskip(NEXT) | instid1(VALU_DEP_2)
	v_add_co_u32 v8, vcc_lo, v10, v8
	v_add_co_ci_u32_e32 v10, vcc_lo, 0, v11, vcc_lo
	s_delay_alu instid0(VALU_DEP_2) | instskip(NEXT) | instid1(VALU_DEP_2)
	v_add_co_u32 v2, vcc_lo, v2, v8
	v_add_co_ci_u32_e32 v7, vcc_lo, v7, v10, vcc_lo
	s_delay_alu instid0(VALU_DEP_2) | instskip(SKIP_1) | instid1(VALU_DEP_3)
	v_mul_hi_u32 v8, s2, v2
	v_mul_lo_u32 v11, s20, v2
	v_mul_lo_u32 v10, s2, v7
	s_delay_alu instid0(VALU_DEP_1) | instskip(SKIP_1) | instid1(VALU_DEP_2)
	v_add_nc_u32_e32 v8, v8, v10
	v_mul_lo_u32 v10, s2, v2
	v_add_nc_u32_e32 v8, v8, v11
	s_delay_alu instid0(VALU_DEP_2) | instskip(NEXT) | instid1(VALU_DEP_2)
	v_mul_hi_u32 v11, v2, v10
	v_mul_lo_u32 v12, v2, v8
	v_mul_hi_u32 v13, v2, v8
	v_mul_hi_u32 v14, v7, v10
	v_mul_lo_u32 v10, v7, v10
	v_mul_hi_u32 v15, v7, v8
	v_mul_lo_u32 v8, v7, v8
	v_add_co_u32 v11, vcc_lo, v11, v12
	v_add_co_ci_u32_e32 v12, vcc_lo, 0, v13, vcc_lo
	s_delay_alu instid0(VALU_DEP_2) | instskip(NEXT) | instid1(VALU_DEP_2)
	v_add_co_u32 v10, vcc_lo, v11, v10
	v_add_co_ci_u32_e32 v10, vcc_lo, v12, v14, vcc_lo
	v_add_co_ci_u32_e32 v11, vcc_lo, 0, v15, vcc_lo
	s_delay_alu instid0(VALU_DEP_2) | instskip(NEXT) | instid1(VALU_DEP_2)
	v_add_co_u32 v8, vcc_lo, v10, v8
	v_add_co_ci_u32_e32 v10, vcc_lo, 0, v11, vcc_lo
	s_delay_alu instid0(VALU_DEP_2) | instskip(NEXT) | instid1(VALU_DEP_2)
	v_add_co_u32 v2, vcc_lo, v2, v8
	v_add_co_ci_u32_e32 v14, vcc_lo, v7, v10, vcc_lo
	s_delay_alu instid0(VALU_DEP_2) | instskip(SKIP_1) | instid1(VALU_DEP_3)
	v_mul_hi_u32 v15, v5, v2
	v_mad_u64_u32 v[10:11], null, v6, v2, 0
	v_mad_u64_u32 v[7:8], null, v5, v14, 0
	;; [unrolled: 1-line block ×3, first 2 shown]
	s_delay_alu instid0(VALU_DEP_2) | instskip(NEXT) | instid1(VALU_DEP_3)
	v_add_co_u32 v2, vcc_lo, v15, v7
	v_add_co_ci_u32_e32 v7, vcc_lo, 0, v8, vcc_lo
	s_delay_alu instid0(VALU_DEP_2) | instskip(NEXT) | instid1(VALU_DEP_2)
	v_add_co_u32 v2, vcc_lo, v2, v10
	v_add_co_ci_u32_e32 v2, vcc_lo, v7, v11, vcc_lo
	v_add_co_ci_u32_e32 v7, vcc_lo, 0, v13, vcc_lo
	s_delay_alu instid0(VALU_DEP_2) | instskip(NEXT) | instid1(VALU_DEP_2)
	v_add_co_u32 v2, vcc_lo, v2, v12
	v_add_co_ci_u32_e32 v10, vcc_lo, 0, v7, vcc_lo
	s_delay_alu instid0(VALU_DEP_2) | instskip(SKIP_1) | instid1(VALU_DEP_3)
	v_mul_lo_u32 v11, s19, v2
	v_mad_u64_u32 v[7:8], null, s18, v2, 0
	v_mul_lo_u32 v12, s18, v10
	s_delay_alu instid0(VALU_DEP_2) | instskip(NEXT) | instid1(VALU_DEP_2)
	v_sub_co_u32 v7, vcc_lo, v5, v7
	v_add3_u32 v8, v8, v12, v11
	s_delay_alu instid0(VALU_DEP_1) | instskip(NEXT) | instid1(VALU_DEP_1)
	v_sub_nc_u32_e32 v11, v6, v8
	v_subrev_co_ci_u32_e64 v11, s2, s19, v11, vcc_lo
	v_add_co_u32 v12, s2, v2, 2
	s_delay_alu instid0(VALU_DEP_1) | instskip(SKIP_3) | instid1(VALU_DEP_3)
	v_add_co_ci_u32_e64 v13, s2, 0, v10, s2
	v_sub_co_u32 v14, s2, v7, s18
	v_sub_co_ci_u32_e32 v8, vcc_lo, v6, v8, vcc_lo
	v_subrev_co_ci_u32_e64 v11, s2, 0, v11, s2
	v_cmp_le_u32_e32 vcc_lo, s18, v14
	s_delay_alu instid0(VALU_DEP_3) | instskip(SKIP_1) | instid1(VALU_DEP_4)
	v_cmp_eq_u32_e64 s2, s19, v8
	v_cndmask_b32_e64 v14, 0, -1, vcc_lo
	v_cmp_le_u32_e32 vcc_lo, s19, v11
	v_cndmask_b32_e64 v15, 0, -1, vcc_lo
	v_cmp_le_u32_e32 vcc_lo, s18, v7
	;; [unrolled: 2-line block ×3, first 2 shown]
	v_cndmask_b32_e64 v16, 0, -1, vcc_lo
	v_cmp_eq_u32_e32 vcc_lo, s19, v11
	s_delay_alu instid0(VALU_DEP_2) | instskip(SKIP_3) | instid1(VALU_DEP_3)
	v_cndmask_b32_e64 v7, v16, v7, s2
	v_cndmask_b32_e32 v11, v15, v14, vcc_lo
	v_add_co_u32 v14, vcc_lo, v2, 1
	v_add_co_ci_u32_e32 v15, vcc_lo, 0, v10, vcc_lo
	v_cmp_ne_u32_e32 vcc_lo, 0, v11
	s_delay_alu instid0(VALU_DEP_2) | instskip(SKIP_1) | instid1(VALU_DEP_2)
	v_dual_cndmask_b32 v8, v15, v13 :: v_dual_cndmask_b32 v11, v14, v12
	v_cmp_ne_u32_e32 vcc_lo, 0, v7
	v_cndmask_b32_e32 v7, v2, v11, vcc_lo
	s_delay_alu instid0(VALU_DEP_3)
	v_cndmask_b32_e32 v8, v10, v8, vcc_lo
.LBB0_4:                                ;   in Loop: Header=BB0_2 Depth=1
	s_and_not1_saveexec_b32 s2, s3
	s_cbranch_execz .LBB0_6
; %bb.5:                                ;   in Loop: Header=BB0_2 Depth=1
	v_cvt_f32_u32_e32 v2, s18
	s_sub_i32 s3, 0, s18
	s_delay_alu instid0(VALU_DEP_1) | instskip(SKIP_2) | instid1(VALU_DEP_1)
	v_rcp_iflag_f32_e32 v2, v2
	s_waitcnt_depctr 0xfff
	v_mul_f32_e32 v2, 0x4f7ffffe, v2
	v_cvt_u32_f32_e32 v2, v2
	s_delay_alu instid0(VALU_DEP_1) | instskip(NEXT) | instid1(VALU_DEP_1)
	v_mul_lo_u32 v7, s3, v2
	v_mul_hi_u32 v7, v2, v7
	s_delay_alu instid0(VALU_DEP_1) | instskip(NEXT) | instid1(VALU_DEP_1)
	v_add_nc_u32_e32 v2, v2, v7
	v_mul_hi_u32 v2, v5, v2
	s_delay_alu instid0(VALU_DEP_1) | instskip(SKIP_1) | instid1(VALU_DEP_2)
	v_mul_lo_u32 v7, v2, s18
	v_add_nc_u32_e32 v8, 1, v2
	v_sub_nc_u32_e32 v7, v5, v7
	s_delay_alu instid0(VALU_DEP_1) | instskip(SKIP_1) | instid1(VALU_DEP_2)
	v_subrev_nc_u32_e32 v10, s18, v7
	v_cmp_le_u32_e32 vcc_lo, s18, v7
	v_dual_cndmask_b32 v7, v7, v10 :: v_dual_cndmask_b32 v2, v2, v8
	s_delay_alu instid0(VALU_DEP_1) | instskip(NEXT) | instid1(VALU_DEP_2)
	v_cmp_le_u32_e32 vcc_lo, s18, v7
	v_add_nc_u32_e32 v8, 1, v2
	s_delay_alu instid0(VALU_DEP_1)
	v_dual_cndmask_b32 v7, v2, v8 :: v_dual_mov_b32 v8, v1
.LBB0_6:                                ;   in Loop: Header=BB0_2 Depth=1
	s_or_b32 exec_lo, exec_lo, s2
	s_load_b64 s[2:3], s[12:13], 0x0
	s_delay_alu instid0(VALU_DEP_1) | instskip(NEXT) | instid1(VALU_DEP_2)
	v_mul_lo_u32 v2, v8, s18
	v_mul_lo_u32 v12, v7, s19
	v_mad_u64_u32 v[10:11], null, v7, s18, 0
	s_add_u32 s16, s16, 1
	s_addc_u32 s17, s17, 0
	s_add_u32 s12, s12, 8
	s_addc_u32 s13, s13, 0
	;; [unrolled: 2-line block ×3, first 2 shown]
	s_delay_alu instid0(VALU_DEP_1) | instskip(SKIP_1) | instid1(VALU_DEP_2)
	v_add3_u32 v2, v11, v12, v2
	v_sub_co_u32 v10, vcc_lo, v5, v10
	v_sub_co_ci_u32_e32 v2, vcc_lo, v6, v2, vcc_lo
	s_waitcnt lgkmcnt(0)
	s_delay_alu instid0(VALU_DEP_2) | instskip(NEXT) | instid1(VALU_DEP_2)
	v_mul_lo_u32 v11, s3, v10
	v_mul_lo_u32 v2, s2, v2
	v_mad_u64_u32 v[5:6], null, s2, v10, v[3:4]
	v_cmp_ge_u64_e64 s2, s[16:17], s[6:7]
	s_delay_alu instid0(VALU_DEP_1) | instskip(NEXT) | instid1(VALU_DEP_2)
	s_and_b32 vcc_lo, exec_lo, s2
	v_add3_u32 v4, v11, v6, v2
	s_delay_alu instid0(VALU_DEP_3)
	v_mov_b32_e32 v3, v5
	s_cbranch_vccnz .LBB0_9
; %bb.7:                                ;   in Loop: Header=BB0_2 Depth=1
	v_dual_mov_b32 v5, v7 :: v_dual_mov_b32 v6, v8
	s_branch .LBB0_2
.LBB0_8:
	v_dual_mov_b32 v8, v6 :: v_dual_mov_b32 v7, v5
.LBB0_9:
	s_lshl_b64 s[2:3], s[6:7], 3
	v_mul_hi_u32 v5, 0x2828283, v0
	s_add_u32 s2, s10, s2
	s_addc_u32 s3, s11, s3
	s_load_b64 s[2:3], s[2:3], 0x0
	s_load_b64 s[0:1], s[0:1], 0x20
	s_waitcnt lgkmcnt(0)
	v_mad_u64_u32 v[1:2], null, s2, v7, v[3:4]
	v_and_b32_e32 v3, 1, v9
	v_mul_lo_u32 v6, s2, v8
	v_mul_lo_u32 v10, s3, v7
	v_mul_u32_u24_e32 v4, 0x66, v5
	s_delay_alu instid0(VALU_DEP_4) | instskip(NEXT) | instid1(VALU_DEP_2)
	v_cmp_eq_u32_e32 vcc_lo, 1, v3
	v_sub_nc_u32_e32 v68, v0, v4
	s_delay_alu instid0(VALU_DEP_4) | instskip(SKIP_2) | instid1(VALU_DEP_3)
	v_add3_u32 v2, v10, v2, v6
	v_cndmask_b32_e64 v10, 0, 0x4c9, vcc_lo
	v_cmp_gt_u64_e32 vcc_lo, s[0:1], v[7:8]
	v_lshlrev_b64 v[70:71], 4, v[1:2]
	s_delay_alu instid0(VALU_DEP_3)
	v_lshlrev_b32_e32 v104, 4, v10
	s_and_saveexec_b32 s1, vcc_lo
	s_cbranch_execz .LBB0_13
; %bb.10:
	v_mov_b32_e32 v69, 0
	s_delay_alu instid0(VALU_DEP_3) | instskip(NEXT) | instid1(VALU_DEP_1)
	v_add_co_u32 v0, s0, s8, v70
	v_add_co_ci_u32_e64 v1, s0, s9, v71, s0
	s_delay_alu instid0(VALU_DEP_3) | instskip(SKIP_1) | instid1(VALU_DEP_1)
	v_lshlrev_b64 v[2:3], 4, v[68:69]
	s_mov_b32 s2, exec_lo
	v_add_co_u32 v7, s0, v0, v2
	v_lshlrev_b32_e32 v2, 4, v68
	s_delay_alu instid0(VALU_DEP_3) | instskip(NEXT) | instid1(VALU_DEP_3)
	v_add_co_ci_u32_e64 v8, s0, v1, v3, s0
	v_add_co_u32 v27, s0, 0x1000, v7
	s_delay_alu instid0(VALU_DEP_3) | instskip(NEXT) | instid1(VALU_DEP_3)
	v_add3_u32 v2, 0, v104, v2
	v_add_co_ci_u32_e64 v28, s0, 0, v8, s0
	v_add_co_u32 v35, s0, 0x2000, v7
	s_delay_alu instid0(VALU_DEP_1) | instskip(SKIP_1) | instid1(VALU_DEP_1)
	v_add_co_ci_u32_e64 v36, s0, 0, v8, s0
	v_add_co_u32 v47, s0, 0x3000, v7
	v_add_co_ci_u32_e64 v48, s0, 0, v8, s0
	s_clause 0x5
	global_load_b128 v[3:6], v[7:8], off
	global_load_b128 v[11:14], v[7:8], off offset:1632
	global_load_b128 v[15:18], v[7:8], off offset:3264
	;; [unrolled: 1-line block ×5, first 2 shown]
	v_add_co_u32 v7, s0, 0x4000, v7
	s_delay_alu instid0(VALU_DEP_1)
	v_add_co_ci_u32_e64 v8, s0, 0, v8, s0
	s_clause 0x5
	global_load_b128 v[31:34], v[35:36], off offset:1600
	global_load_b128 v[35:38], v[35:36], off offset:3232
	;; [unrolled: 1-line block ×6, first 2 shown]
	s_waitcnt vmcnt(11)
	ds_store_b128 v2, v[3:6]
	s_waitcnt vmcnt(10)
	ds_store_b128 v2, v[11:14] offset:1632
	s_waitcnt vmcnt(9)
	ds_store_b128 v2, v[15:18] offset:3264
	s_waitcnt vmcnt(8)
	ds_store_b128 v2, v[19:22] offset:4896
	s_waitcnt vmcnt(7)
	ds_store_b128 v2, v[23:26] offset:6528
	s_waitcnt vmcnt(6)
	ds_store_b128 v2, v[27:30] offset:8160
	s_waitcnt vmcnt(5)
	ds_store_b128 v2, v[31:34] offset:9792
	s_waitcnt vmcnt(4)
	ds_store_b128 v2, v[35:38] offset:11424
	s_waitcnt vmcnt(3)
	ds_store_b128 v2, v[39:42] offset:13056
	s_waitcnt vmcnt(2)
	ds_store_b128 v2, v[43:46] offset:14688
	s_waitcnt vmcnt(1)
	ds_store_b128 v2, v[47:50] offset:16320
	s_waitcnt vmcnt(0)
	ds_store_b128 v2, v[51:54] offset:17952
	v_cmpx_eq_u32_e32 0x65, v68
	s_cbranch_execz .LBB0_12
; %bb.11:
	v_add_co_u32 v0, s0, 0x4000, v0
	s_delay_alu instid0(VALU_DEP_1)
	v_add_co_ci_u32_e64 v1, s0, 0, v1, s0
	v_mov_b32_e32 v68, 0x65
	global_load_b128 v[3:6], v[0:1], off offset:3200
	s_waitcnt vmcnt(0)
	ds_store_b128 v2, v[3:6] offset:17968
.LBB0_12:
	s_or_b32 exec_lo, exec_lo, s2
.LBB0_13:
	s_delay_alu instid0(SALU_CYCLE_1)
	s_or_b32 exec_lo, exec_lo, s1
	v_lshl_add_u32 v105, v10, 4, 0
	v_lshlrev_b32_e32 v0, 4, v68
	s_waitcnt lgkmcnt(0)
	s_barrier
	buffer_gl0_inv
	s_add_u32 s1, s4, 0x4b70
	v_add_nc_u32_e32 v106, v105, v0
	v_sub_nc_u32_e32 v11, v105, v0
	s_addc_u32 s2, s5, 0
	s_mov_b32 s3, exec_lo
	ds_load_b64 v[6:7], v106
	ds_load_b64 v[8:9], v11 offset:19584
                                        ; implicit-def: $vgpr4_vgpr5
	s_waitcnt lgkmcnt(0)
	v_add_f64 v[0:1], v[6:7], v[8:9]
	v_add_f64 v[2:3], v[6:7], -v[8:9]
	v_cmpx_ne_u32_e32 0, v68
	s_xor_b32 s3, exec_lo, s3
	s_cbranch_execz .LBB0_15
; %bb.14:
	v_mov_b32_e32 v69, 0
	v_add_f64 v[14:15], v[6:7], v[8:9]
	v_add_f64 v[16:17], v[6:7], -v[8:9]
	s_delay_alu instid0(VALU_DEP_3) | instskip(NEXT) | instid1(VALU_DEP_1)
	v_lshlrev_b64 v[0:1], 4, v[68:69]
	v_add_co_u32 v0, s0, s1, v0
	s_delay_alu instid0(VALU_DEP_1)
	v_add_co_ci_u32_e64 v1, s0, s2, v1, s0
	global_load_b128 v[2:5], v[0:1], off
	ds_load_b64 v[0:1], v11 offset:19592
	ds_load_b64 v[12:13], v106 offset:8
	s_waitcnt lgkmcnt(0)
	v_add_f64 v[6:7], v[0:1], v[12:13]
	v_add_f64 v[0:1], v[12:13], -v[0:1]
	s_waitcnt vmcnt(0)
	v_fma_f64 v[8:9], v[16:17], v[4:5], v[14:15]
	v_fma_f64 v[12:13], -v[16:17], v[4:5], v[14:15]
	s_delay_alu instid0(VALU_DEP_3) | instskip(SKIP_1) | instid1(VALU_DEP_4)
	v_fma_f64 v[14:15], v[6:7], v[4:5], -v[0:1]
	v_fma_f64 v[4:5], v[6:7], v[4:5], v[0:1]
	v_fma_f64 v[0:1], -v[6:7], v[2:3], v[8:9]
	s_delay_alu instid0(VALU_DEP_4) | instskip(NEXT) | instid1(VALU_DEP_4)
	v_fma_f64 v[6:7], v[6:7], v[2:3], v[12:13]
	v_fma_f64 v[8:9], v[16:17], v[2:3], v[14:15]
	s_delay_alu instid0(VALU_DEP_4)
	v_fma_f64 v[2:3], v[16:17], v[2:3], v[4:5]
	v_dual_mov_b32 v4, v68 :: v_dual_mov_b32 v5, v69
	ds_store_b128 v11, v[6:9] offset:19584
.LBB0_15:
	s_and_not1_saveexec_b32 s0, s3
	s_cbranch_execz .LBB0_17
; %bb.16:
	ds_load_b128 v[4:7], v105 offset:9792
	s_waitcnt lgkmcnt(0)
	v_add_f64 v[12:13], v[4:5], v[4:5]
	v_mul_f64 v[14:15], v[6:7], -2.0
	v_mov_b32_e32 v4, 0
	v_mov_b32_e32 v5, 0
	ds_store_b128 v105, v[12:15] offset:9792
.LBB0_17:
	s_or_b32 exec_lo, exec_lo, s0
	v_lshlrev_b64 v[4:5], 4, v[4:5]
	v_lshl_add_u32 v107, v68, 4, 0
	s_mov_b32 s33, exec_lo
	s_delay_alu instid0(VALU_DEP_1) | instskip(NEXT) | instid1(VALU_DEP_3)
	v_lshl_add_u32 v69, v10, 4, v107
	v_add_co_u32 v8, s0, s1, v4
	s_delay_alu instid0(VALU_DEP_1)
	v_add_co_ci_u32_e64 v9, s0, s2, v5, s0
	s_clause 0x1
	global_load_b128 v[4:7], v[8:9], off offset:1632
	global_load_b128 v[12:15], v[8:9], off offset:3264
	ds_store_b128 v106, v[0:3]
	ds_load_b128 v[0:3], v106 offset:1632
	ds_load_b128 v[16:19], v11 offset:17952
	v_add_co_u32 v24, s0, 0x1000, v8
	s_delay_alu instid0(VALU_DEP_1)
	v_add_co_ci_u32_e64 v25, s0, 0, v9, s0
	global_load_b128 v[20:23], v[24:25], off offset:800
	s_waitcnt lgkmcnt(0)
	v_add_f64 v[8:9], v[0:1], v[16:17]
	v_add_f64 v[26:27], v[18:19], v[2:3]
	v_add_f64 v[16:17], v[0:1], -v[16:17]
	v_add_f64 v[0:1], v[2:3], -v[18:19]
	s_waitcnt vmcnt(2)
	s_delay_alu instid0(VALU_DEP_2) | instskip(NEXT) | instid1(VALU_DEP_2)
	v_fma_f64 v[2:3], v[16:17], v[6:7], v[8:9]
	v_fma_f64 v[18:19], v[26:27], v[6:7], v[0:1]
	v_fma_f64 v[8:9], -v[16:17], v[6:7], v[8:9]
	v_fma_f64 v[28:29], v[26:27], v[6:7], -v[0:1]
	s_delay_alu instid0(VALU_DEP_4) | instskip(NEXT) | instid1(VALU_DEP_4)
	v_fma_f64 v[0:1], -v[26:27], v[4:5], v[2:3]
	v_fma_f64 v[2:3], v[16:17], v[4:5], v[18:19]
	s_delay_alu instid0(VALU_DEP_4) | instskip(NEXT) | instid1(VALU_DEP_4)
	v_fma_f64 v[6:7], v[26:27], v[4:5], v[8:9]
	v_fma_f64 v[8:9], v[16:17], v[4:5], v[28:29]
	ds_store_b128 v106, v[0:3] offset:1632
	ds_store_b128 v11, v[6:9] offset:17952
	ds_load_b128 v[0:3], v106 offset:3264
	ds_load_b128 v[4:7], v11 offset:16320
	global_load_b128 v[16:19], v[24:25], off offset:2432
	s_waitcnt lgkmcnt(0)
	v_add_f64 v[8:9], v[0:1], v[4:5]
	v_add_f64 v[26:27], v[6:7], v[2:3]
	v_add_f64 v[28:29], v[0:1], -v[4:5]
	v_add_f64 v[0:1], v[2:3], -v[6:7]
	s_waitcnt vmcnt(2)
	s_delay_alu instid0(VALU_DEP_2) | instskip(NEXT) | instid1(VALU_DEP_2)
	v_fma_f64 v[2:3], v[28:29], v[14:15], v[8:9]
	v_fma_f64 v[4:5], v[26:27], v[14:15], v[0:1]
	v_fma_f64 v[6:7], -v[28:29], v[14:15], v[8:9]
	v_fma_f64 v[8:9], v[26:27], v[14:15], -v[0:1]
	s_delay_alu instid0(VALU_DEP_4) | instskip(NEXT) | instid1(VALU_DEP_4)
	v_fma_f64 v[0:1], -v[26:27], v[12:13], v[2:3]
	v_fma_f64 v[2:3], v[28:29], v[12:13], v[4:5]
	s_delay_alu instid0(VALU_DEP_4) | instskip(NEXT) | instid1(VALU_DEP_4)
	v_fma_f64 v[4:5], v[26:27], v[12:13], v[6:7]
	v_fma_f64 v[6:7], v[28:29], v[12:13], v[8:9]
	ds_store_b128 v106, v[0:3] offset:3264
	ds_store_b128 v11, v[4:7] offset:16320
	ds_load_b128 v[0:3], v106 offset:4896
	ds_load_b128 v[4:7], v11 offset:14688
	;; [unrolled: 22-line block ×3, first 2 shown]
	s_waitcnt lgkmcnt(0)
	v_add_f64 v[8:9], v[0:1], v[4:5]
	v_add_f64 v[20:21], v[6:7], v[2:3]
	v_add_f64 v[22:23], v[0:1], -v[4:5]
	v_add_f64 v[0:1], v[2:3], -v[6:7]
	s_waitcnt vmcnt(1)
	s_delay_alu instid0(VALU_DEP_2) | instskip(NEXT) | instid1(VALU_DEP_2)
	v_fma_f64 v[2:3], v[22:23], v[18:19], v[8:9]
	v_fma_f64 v[4:5], v[20:21], v[18:19], v[0:1]
	v_fma_f64 v[6:7], -v[22:23], v[18:19], v[8:9]
	v_fma_f64 v[8:9], v[20:21], v[18:19], -v[0:1]
	s_delay_alu instid0(VALU_DEP_4) | instskip(NEXT) | instid1(VALU_DEP_4)
	v_fma_f64 v[0:1], -v[20:21], v[16:17], v[2:3]
	v_fma_f64 v[2:3], v[22:23], v[16:17], v[4:5]
	s_delay_alu instid0(VALU_DEP_4) | instskip(NEXT) | instid1(VALU_DEP_4)
	v_fma_f64 v[4:5], v[20:21], v[16:17], v[6:7]
	v_fma_f64 v[6:7], v[22:23], v[16:17], v[8:9]
	ds_store_b128 v106, v[0:3] offset:6528
	ds_store_b128 v11, v[4:7] offset:13056
	ds_load_b128 v[0:3], v106 offset:8160
	ds_load_b128 v[4:7], v11 offset:11424
	s_waitcnt lgkmcnt(0)
	v_add_f64 v[8:9], v[0:1], v[4:5]
	v_add_f64 v[16:17], v[6:7], v[2:3]
	v_add_f64 v[18:19], v[0:1], -v[4:5]
	v_add_f64 v[0:1], v[2:3], -v[6:7]
	s_waitcnt vmcnt(0)
	s_delay_alu instid0(VALU_DEP_2) | instskip(NEXT) | instid1(VALU_DEP_2)
	v_fma_f64 v[2:3], v[18:19], v[14:15], v[8:9]
	v_fma_f64 v[4:5], v[16:17], v[14:15], v[0:1]
	v_fma_f64 v[6:7], -v[18:19], v[14:15], v[8:9]
	v_fma_f64 v[8:9], v[16:17], v[14:15], -v[0:1]
	s_delay_alu instid0(VALU_DEP_4) | instskip(NEXT) | instid1(VALU_DEP_4)
	v_fma_f64 v[0:1], -v[16:17], v[12:13], v[2:3]
	v_fma_f64 v[2:3], v[18:19], v[12:13], v[4:5]
	s_delay_alu instid0(VALU_DEP_4) | instskip(NEXT) | instid1(VALU_DEP_4)
	v_fma_f64 v[4:5], v[16:17], v[12:13], v[6:7]
	v_fma_f64 v[6:7], v[18:19], v[12:13], v[8:9]
	ds_store_b128 v106, v[0:3] offset:8160
	ds_store_b128 v11, v[4:7] offset:11424
	s_waitcnt lgkmcnt(0)
	s_barrier
	buffer_gl0_inv
	s_barrier
	buffer_gl0_inv
	ds_load_b128 v[8:11], v106
	ds_load_b128 v[36:39], v69 offset:1152
	ds_load_b128 v[40:43], v69 offset:2304
	;; [unrolled: 1-line block ×16, first 2 shown]
	s_waitcnt lgkmcnt(0)
	s_barrier
	buffer_gl0_inv
	v_cmpx_gt_u32_e32 0x48, v68
	s_cbranch_execz .LBB0_19
; %bb.18:
	v_add_f64 v[72:73], v[10:11], v[38:39]
	v_add_f64 v[74:75], v[8:9], v[36:37]
	v_add_f64 v[78:79], v[56:57], -v[32:33]
	v_add_f64 v[80:81], v[58:59], -v[34:35]
	;; [unrolled: 1-line block ×3, first 2 shown]
	s_mov_b32 s28, 0x7c9e640b
	s_mov_b32 s22, 0x6c9a05f6
	;; [unrolled: 1-line block ×12, first 2 shown]
	v_add_f64 v[84:85], v[64:65], -v[28:29]
	v_add_f64 v[76:77], v[66:67], v[30:31]
	v_add_f64 v[36:37], v[36:37], v[0:1]
	s_mov_b32 s42, 0xeb564b22
	s_mov_b32 s38, 0x923c349f
	;; [unrolled: 1-line block ×18, first 2 shown]
	v_add_f64 v[72:73], v[72:73], v[42:43]
	v_add_f64 v[74:75], v[74:75], v[40:41]
	s_mov_b32 s45, 0x3feec746
	s_mov_b32 s34, s42
	v_mul_f64 v[112:113], v[102:103], s[22:23]
	v_mul_f64 v[120:121], v[102:103], s[46:47]
	s_mov_b32 s36, s20
	s_mov_b32 s44, s38
	v_add_f64 v[88:89], v[60:61], -v[24:25]
	v_add_f64 v[82:83], v[62:63], v[26:27]
	v_add_f64 v[98:99], v[44:45], -v[12:13]
	v_add_f64 v[96:97], v[46:47], v[14:15]
	v_mul_f64 v[114:115], v[102:103], s[38:39]
	v_mul_f64 v[116:117], v[102:103], s[34:35]
	;; [unrolled: 1-line block ×3, first 2 shown]
	s_mov_b32 s26, 0x3259b75e
	s_mov_b32 s30, 0xc61f0d01
	s_mov_b32 s0, 0x7faef3
	s_mov_b32 s6, 0x370991
	s_mov_b32 s27, 0x3fb79ee6
	s_mov_b32 s31, 0xbfd183b1
	s_mov_b32 s1, 0xbfef7484
	s_mov_b32 s7, 0x3fedd6d0
	s_mov_b32 s49, 0x3fe0d888
	s_mov_b32 s53, 0x3fc7851a
	s_mov_b32 s48, s24
	s_mov_b32 s52, s14
	v_add_f64 v[92:93], v[52:53], -v[20:21]
	v_add_f64 v[86:87], v[54:55], v[22:23]
	v_add_f64 v[94:95], v[48:49], -v[16:17]
	v_add_f64 v[90:91], v[50:51], v[18:19]
	s_mov_b32 s51, 0x3fe9895b
	s_mov_b32 s50, s22
	v_add_f64 v[72:73], v[72:73], v[46:47]
	v_add_f64 v[74:75], v[74:75], v[44:45]
	v_add_f64 v[46:47], v[46:47], -v[14:15]
	v_add_f64 v[44:45], v[44:45], v[12:13]
	v_mul_f64 v[140:141], v[98:99], s[24:25]
	v_mul_f64 v[148:149], v[98:99], s[34:35]
	;; [unrolled: 1-line block ×7, first 2 shown]
	v_add_f64 v[72:73], v[72:73], v[50:51]
	v_add_f64 v[74:75], v[74:75], v[48:49]
	v_add_f64 v[50:51], v[50:51], -v[18:19]
	v_mul_f64 v[150:151], v[46:47], s[34:35]
	v_mul_f64 v[154:155], v[46:47], s[36:37]
	v_add_f64 v[48:49], v[48:49], v[16:17]
	v_mul_f64 v[142:143], v[46:47], s[24:25]
	v_mul_f64 v[162:163], v[46:47], s[18:19]
	;; [unrolled: 1-line block ×6, first 2 shown]
	v_fma_f64 v[218:219], v[96:97], s[2:3], v[140:141]
	v_fma_f64 v[140:141], v[96:97], s[2:3], -v[140:141]
	v_fma_f64 v[224:225], v[96:97], s[26:27], v[148:149]
	v_fma_f64 v[148:149], v[96:97], s[26:27], -v[148:149]
	v_fma_f64 v[232:233], v[96:97], s[10:11], -v[160:161]
	;; [unrolled: 1-line block ×5, first 2 shown]
	v_fma_f64 v[160:161], v[96:97], s[10:11], v[160:161]
	v_fma_f64 v[168:169], v[96:97], s[30:31], v[168:169]
	;; [unrolled: 1-line block ×4, first 2 shown]
	v_add_f64 v[72:73], v[72:73], v[54:55]
	v_add_f64 v[74:75], v[74:75], v[52:53]
	;; [unrolled: 1-line block ×3, first 2 shown]
	v_add_f64 v[54:55], v[54:55], -v[22:23]
	v_fma_f64 v[254:255], v[44:45], s[26:27], -v[150:151]
	v_fma_f64 v[150:151], v[44:45], s[26:27], v[150:151]
	v_add_f64 v[72:73], v[72:73], v[62:63]
	v_add_f64 v[74:75], v[74:75], v[60:61]
	;; [unrolled: 1-line block ×3, first 2 shown]
	v_add_f64 v[62:63], v[62:63], -v[26:27]
	s_delay_alu instid0(VALU_DEP_4) | instskip(NEXT) | instid1(VALU_DEP_4)
	v_add_f64 v[100:101], v[72:73], v[66:67]
	v_add_f64 v[108:109], v[74:75], v[64:65]
	;; [unrolled: 1-line block ×5, first 2 shown]
	v_add_f64 v[66:67], v[66:67], -v[30:31]
	v_add_f64 v[110:111], v[100:101], v[58:59]
	v_add_f64 v[108:109], v[108:109], v[56:57]
	;; [unrolled: 1-line block ×3, first 2 shown]
	v_add_f64 v[38:39], v[38:39], -v[2:3]
	v_add_f64 v[100:101], v[40:41], -v[4:5]
	v_add_f64 v[56:57], v[42:43], v[6:7]
	v_add_f64 v[42:43], v[42:43], -v[6:7]
	v_add_f64 v[40:41], v[40:41], v[4:5]
	v_add_f64 v[34:35], v[110:111], v[34:35]
	;; [unrolled: 1-line block ×3, first 2 shown]
	v_mul_f64 v[110:111], v[102:103], s[24:25]
	v_mul_f64 v[124:125], v[38:39], s[24:25]
	v_mul_f64 v[126:127], v[38:39], s[22:23]
	v_mul_f64 v[132:133], v[38:39], s[40:41]
	v_mul_f64 v[108:109], v[102:103], s[14:15]
	v_mul_f64 v[102:103], v[102:103], s[36:37]
	v_mul_f64 v[122:123], v[38:39], s[14:15]
	v_mul_f64 v[128:129], v[38:39], s[38:39]
	v_mul_f64 v[130:131], v[38:39], s[34:35]
	v_mul_f64 v[134:135], v[38:39], s[46:47]
	v_mul_f64 v[38:39], v[38:39], s[36:37]
	v_mul_f64 v[144:145], v[100:101], s[28:29]
	v_mul_f64 v[146:147], v[42:43], s[28:29]
	v_mul_f64 v[152:153], v[100:101], s[44:45]
	v_mul_f64 v[172:173], v[42:43], s[22:23]
	v_mul_f64 v[176:177], v[100:101], s[34:35]
	v_fma_f64 v[194:195], v[58:59], s[12:13], v[112:113]
	v_mul_f64 v[136:137], v[100:101], s[20:21]
	v_mul_f64 v[138:139], v[42:43], s[20:21]
	;; [unrolled: 1-line block ×9, first 2 shown]
	v_fma_f64 v[112:113], v[58:59], s[12:13], -v[112:113]
	v_fma_f64 v[196:197], v[58:59], s[30:31], v[114:115]
	v_fma_f64 v[114:115], v[58:59], s[30:31], -v[114:115]
	v_fma_f64 v[198:199], v[58:59], s[26:27], v[116:117]
	;; [unrolled: 2-line block ×3, first 2 shown]
	v_fma_f64 v[118:119], v[58:59], s[16:17], -v[118:119]
	v_add_f64 v[30:31], v[34:35], v[30:31]
	v_add_f64 v[28:29], v[32:33], v[28:29]
	v_mul_f64 v[32:33], v[42:43], s[44:45]
	v_fma_f64 v[192:193], v[58:59], s[2:3], v[110:111]
	v_fma_f64 v[110:111], v[58:59], s[2:3], -v[110:111]
	v_fma_f64 v[202:203], v[36:37], s[2:3], -v[124:125]
	v_fma_f64 v[124:125], v[36:37], s[2:3], v[124:125]
	v_fma_f64 v[204:205], v[36:37], s[12:13], -v[126:127]
	v_fma_f64 v[210:211], v[36:37], s[16:17], -v[132:133]
	v_fma_f64 v[132:133], v[36:37], s[16:17], v[132:133]
	v_mul_f64 v[34:35], v[98:99], s[36:37]
	v_mul_f64 v[98:99], v[98:99], s[40:41]
	;; [unrolled: 1-line block ×3, first 2 shown]
	v_fma_f64 v[190:191], v[58:59], s[0:1], v[108:109]
	v_fma_f64 v[108:109], v[58:59], s[0:1], -v[108:109]
	v_fma_f64 v[126:127], v[36:37], s[12:13], v[126:127]
	v_fma_f64 v[206:207], v[36:37], s[30:31], -v[128:129]
	;; [unrolled: 2-line block ×6, first 2 shown]
	v_fma_f64 v[144:145], v[56:57], s[16:17], -v[144:145]
	v_fma_f64 v[146:147], v[40:41], s[16:17], v[146:147]
	v_fma_f64 v[226:227], v[56:57], s[30:31], v[152:153]
	;; [unrolled: 1-line block ×3, first 2 shown]
	v_fma_f64 v[246:247], v[56:57], s[26:27], -v[176:177]
	v_add_f64 v[194:195], v[10:11], v[194:195]
	v_fma_f64 v[216:217], v[40:41], s[6:7], -v[138:139]
	v_fma_f64 v[152:153], v[56:57], s[30:31], -v[152:153]
	;; [unrolled: 1-line block ×5, first 2 shown]
	v_fma_f64 v[164:165], v[56:57], s[0:1], v[164:165]
	v_fma_f64 v[170:171], v[56:57], s[12:13], v[170:171]
	v_add_f64 v[26:27], v[30:31], v[26:27]
	v_add_f64 v[24:25], v[28:29], v[24:25]
	v_fma_f64 v[30:31], v[58:59], s[10:11], -v[120:121]
	v_fma_f64 v[28:29], v[58:59], s[10:11], v[120:121]
	v_fma_f64 v[120:121], v[58:59], s[6:7], v[102:103]
	v_fma_f64 v[58:59], v[58:59], s[6:7], -v[102:103]
	v_fma_f64 v[102:103], v[36:37], s[0:1], -v[122:123]
	v_fma_f64 v[122:123], v[36:37], s[0:1], v[122:123]
	v_fma_f64 v[36:37], v[36:37], s[6:7], v[38:39]
	v_fma_f64 v[228:229], v[40:41], s[30:31], -v[32:33]
	v_add_f64 v[192:193], v[10:11], v[192:193]
	v_add_f64 v[202:203], v[8:9], v[202:203]
	;; [unrolled: 1-line block ×6, first 2 shown]
	v_fma_f64 v[38:39], v[56:57], s[6:7], v[136:137]
	v_fma_f64 v[136:137], v[56:57], s[6:7], -v[136:137]
	v_fma_f64 v[230:231], v[96:97], s[6:7], v[34:35]
	v_fma_f64 v[176:177], v[56:57], s[26:27], v[176:177]
	v_add_f64 v[190:191], v[10:11], v[190:191]
	v_add_f64 v[108:109], v[10:11], v[108:109]
	;; [unrolled: 1-line block ×21, first 2 shown]
	v_fma_f64 v[24:25], v[40:41], s[30:31], v[32:33]
	v_fma_f64 v[26:27], v[96:97], s[6:7], -v[34:35]
	v_fma_f64 v[32:33], v[56:57], s[2:3], -v[156:157]
	v_fma_f64 v[34:35], v[40:41], s[2:3], v[158:159]
	v_fma_f64 v[156:157], v[56:57], s[2:3], v[156:157]
	v_fma_f64 v[56:57], v[56:57], s[10:11], v[100:101]
	v_fma_f64 v[100:101], v[96:97], s[16:17], -v[98:99]
	v_fma_f64 v[96:97], v[96:97], s[16:17], v[98:99]
	v_fma_f64 v[98:99], v[40:41], s[10:11], v[42:43]
	v_add_f64 v[102:103], v[8:9], v[102:103]
	v_add_f64 v[122:123], v[8:9], v[122:123]
	;; [unrolled: 1-line block ×11, first 2 shown]
	v_mul_f64 v[226:227], v[94:95], s[50:51]
	v_add_f64 v[204:205], v[228:229], v[204:205]
	v_mul_f64 v[228:229], v[50:51], s[50:51]
	v_add_f64 v[132:133], v[242:243], v[132:133]
	v_mul_f64 v[242:243], v[94:95], s[24:25]
	v_fma_f64 v[138:139], v[40:41], s[6:7], v[138:139]
	v_fma_f64 v[236:237], v[40:41], s[0:1], v[166:167]
	;; [unrolled: 1-line block ×3, first 2 shown]
	v_fma_f64 v[158:159], v[40:41], s[2:3], -v[158:159]
	v_fma_f64 v[166:167], v[40:41], s[0:1], -v[166:167]
	;; [unrolled: 1-line block ×6, first 2 shown]
	v_fma_f64 v[142:143], v[44:45], s[2:3], v[142:143]
	v_add_f64 v[18:19], v[22:23], v[18:19]
	v_add_f64 v[16:17], v[20:21], v[16:17]
	v_fma_f64 v[20:21], v[44:45], s[6:7], -v[154:155]
	v_add_f64 v[30:31], v[246:247], v[30:31]
	v_mul_f64 v[246:247], v[50:51], s[24:25]
	v_fma_f64 v[22:23], v[44:45], s[6:7], v[154:155]
	v_fma_f64 v[154:155], v[44:45], s[10:11], v[162:163]
	v_fma_f64 v[162:163], v[44:45], s[10:11], -v[162:163]
	v_fma_f64 v[36:37], v[44:45], s[30:31], v[182:183]
	v_fma_f64 v[58:59], v[44:45], s[30:31], -v[182:183]
	;; [unrolled: 2-line block ×3, first 2 shown]
	v_add_f64 v[38:39], v[38:39], v[190:191]
	v_add_f64 v[102:103], v[216:217], v[102:103]
	;; [unrolled: 1-line block ×4, first 2 shown]
	v_mul_f64 v[152:153], v[92:93], s[36:37]
	v_add_f64 v[24:25], v[24:25], v[126:127]
	v_mul_f64 v[126:127], v[54:55], s[36:37]
	v_add_f64 v[34:35], v[34:35], v[128:129]
	v_add_f64 v[118:119], v[240:241], v[118:119]
	;; [unrolled: 1-line block ×3, first 2 shown]
	v_mul_f64 v[252:253], v[92:93], s[42:43]
	v_add_f64 v[8:9], v[98:99], v[8:9]
	v_mul_f64 v[98:99], v[54:55], s[42:43]
	v_add_f64 v[164:165], v[164:165], v[198:199]
	;; [unrolled: 2-line block ×3, first 2 shown]
	v_fma_f64 v[224:225], v[90:91], s[12:13], v[226:227]
	v_add_f64 v[202:203], v[254:255], v[202:203]
	v_fma_f64 v[254:255], v[48:49], s[12:13], -v[228:229]
	v_add_f64 v[110:111], v[148:149], v[110:111]
	v_fma_f64 v[226:227], v[90:91], s[12:13], -v[226:227]
	v_add_f64 v[124:125], v[150:151], v[124:125]
	v_fma_f64 v[228:229], v[48:49], s[12:13], v[228:229]
	v_add_f64 v[194:195], v[230:231], v[194:195]
	v_fma_f64 v[230:231], v[90:91], s[2:3], v[242:243]
	v_add_f64 v[122:123], v[138:139], v[122:123]
	v_add_f64 v[14:15], v[18:19], v[14:15]
	;; [unrolled: 1-line block ×3, first 2 shown]
	v_fma_f64 v[16:17], v[44:45], s[12:13], v[186:187]
	v_fma_f64 v[18:19], v[44:45], s[12:13], -v[186:187]
	v_fma_f64 v[186:187], v[44:45], s[16:17], v[46:47]
	v_fma_f64 v[44:45], v[44:45], s[16:17], -v[46:47]
	v_mul_f64 v[46:47], v[50:51], s[18:19]
	v_add_f64 v[20:21], v[20:21], v[204:205]
	v_fma_f64 v[204:205], v[48:49], s[2:3], -v[246:247]
	v_mul_f64 v[190:191], v[92:93], s[22:23]
	v_mul_f64 v[216:217], v[54:55], s[22:23]
	;; [unrolled: 1-line block ×3, first 2 shown]
	v_add_f64 v[130:131], v[236:237], v[130:131]
	v_add_f64 v[156:157], v[156:157], v[196:197]
	v_mul_f64 v[196:197], v[88:89], s[46:47]
	v_add_f64 v[166:167], v[166:167], v[208:209]
	v_mul_f64 v[208:209], v[62:63], s[46:47]
	v_add_f64 v[38:39], v[218:219], v[38:39]
	v_fma_f64 v[218:219], v[90:91], s[10:11], v[188:189]
	v_add_f64 v[42:43], v[42:43], v[102:103]
	v_add_f64 v[108:109], v[140:141], v[108:109]
	v_fma_f64 v[188:189], v[90:91], s[10:11], -v[188:189]
	v_add_f64 v[178:179], v[178:179], v[212:213]
	v_mul_f64 v[212:213], v[54:55], s[14:15]
	v_add_f64 v[26:27], v[26:27], v[112:113]
	v_fma_f64 v[242:243], v[90:91], s[2:3], -v[242:243]
	v_add_f64 v[22:23], v[22:23], v[24:25]
	v_fma_f64 v[246:247], v[48:49], s[2:3], v[246:247]
	v_add_f64 v[34:35], v[154:155], v[34:35]
	v_fma_f64 v[154:155], v[48:49], s[16:17], v[198:199]
	;; [unrolled: 2-line block ×3, first 2 shown]
	v_add_f64 v[192:193], v[224:225], v[192:193]
	v_fma_f64 v[224:225], v[52:53], s[6:7], -v[126:127]
	v_add_f64 v[202:203], v[254:255], v[202:203]
	v_add_f64 v[110:111], v[226:227], v[110:111]
	v_fma_f64 v[152:153], v[86:87], s[6:7], -v[152:153]
	v_add_f64 v[124:125], v[228:229], v[124:125]
	v_fma_f64 v[126:127], v[52:53], s[6:7], v[126:127]
	v_add_f64 v[194:195], v[230:231], v[194:195]
	v_fma_f64 v[230:231], v[86:87], s[26:27], v[252:253]
	v_add_f64 v[122:123], v[142:143], v[122:123]
	v_add_f64 v[32:33], v[32:33], v[114:115]
	;; [unrolled: 1-line block ×3, first 2 shown]
	v_fma_f64 v[102:103], v[48:49], s[10:11], -v[46:47]
	v_fma_f64 v[46:47], v[48:49], s[10:11], v[46:47]
	v_add_f64 v[20:21], v[204:205], v[20:21]
	v_fma_f64 v[204:205], v[52:53], s[26:27], -v[98:99]
	v_add_f64 v[158:159], v[158:159], v[206:207]
	v_mul_f64 v[206:207], v[94:95], s[40:41]
	v_add_f64 v[40:41], v[40:41], v[214:215]
	v_mul_f64 v[214:215], v[62:63], s[42:43]
	v_mul_f64 v[112:113], v[94:95], s[20:21]
	;; [unrolled: 1-line block ×3, first 2 shown]
	v_add_f64 v[36:37], v[36:37], v[130:131]
	v_mul_f64 v[130:131], v[94:95], s[44:45]
	v_add_f64 v[38:39], v[218:219], v[38:39]
	v_fma_f64 v[218:219], v[86:87], s[12:13], v[190:191]
	v_fma_f64 v[190:191], v[86:87], s[12:13], -v[190:191]
	v_add_f64 v[108:109], v[188:189], v[108:109]
	v_mul_f64 v[254:255], v[50:51], s[44:45]
	v_fma_f64 v[252:253], v[86:87], s[26:27], -v[252:253]
	v_add_f64 v[132:133], v[182:183], v[132:133]
	v_add_f64 v[26:27], v[242:243], v[26:27]
	v_mul_f64 v[242:243], v[94:95], s[14:15]
	v_add_f64 v[22:23], v[246:247], v[22:23]
	v_mul_f64 v[246:247], v[50:51], s[14:15]
	v_add_f64 v[34:35], v[154:155], v[34:35]
	v_fma_f64 v[154:155], v[52:53], s[0:1], v[212:213]
	v_mul_f64 v[94:95], v[94:95], s[34:35]
	v_mul_f64 v[50:51], v[50:51], s[34:35]
	v_fma_f64 v[182:183], v[60:61], s[10:11], -v[208:209]
	v_add_f64 v[202:203], v[224:225], v[202:203]
	v_fma_f64 v[224:225], v[60:61], s[0:1], -v[128:129]
	v_fma_f64 v[128:129], v[60:61], s[0:1], v[128:129]
	v_add_f64 v[110:111], v[152:153], v[110:111]
	v_fma_f64 v[152:153], v[82:83], s[10:11], v[196:197]
	v_add_f64 v[124:125], v[126:127], v[124:125]
	v_add_f64 v[194:195], v[230:231], v[194:195]
	v_mul_f64 v[136:137], v[88:89], s[28:29]
	v_mul_f64 v[138:139], v[62:63], s[28:29]
	;; [unrolled: 1-line block ×3, first 2 shown]
	v_add_f64 v[42:43], v[102:103], v[42:43]
	v_fma_f64 v[102:103], v[52:53], s[12:13], -v[216:217]
	v_add_f64 v[134:135], v[248:249], v[134:135]
	v_add_f64 v[20:21], v[204:205], v[20:21]
	;; [unrolled: 1-line block ×3, first 2 shown]
	v_fma_f64 v[216:217], v[52:53], s[12:13], v[216:217]
	v_add_f64 v[170:171], v[170:171], v[200:201]
	v_add_f64 v[172:173], v[172:173], v[210:211]
	;; [unrolled: 1-line block ×4, first 2 shown]
	v_mul_f64 v[142:143], v[92:93], s[14:15]
	v_add_f64 v[32:33], v[232:233], v[32:33]
	v_fma_f64 v[232:233], v[90:91], s[16:17], -v[206:207]
	v_mul_f64 v[188:189], v[92:93], s[40:41]
	v_mul_f64 v[122:123], v[54:55], s[40:41]
	v_add_f64 v[116:117], v[238:239], v[116:117]
	v_mul_f64 v[226:227], v[92:93], s[18:19]
	v_mul_f64 v[228:229], v[54:55], s[18:19]
	v_add_f64 v[108:109], v[190:191], v[108:109]
	v_mul_f64 v[190:191], v[54:55], s[48:49]
	v_mul_f64 v[54:55], v[54:55], s[38:39]
	v_fma_f64 v[204:205], v[90:91], s[6:7], -v[112:113]
	v_add_f64 v[26:27], v[252:253], v[26:27]
	v_fma_f64 v[252:253], v[48:49], s[6:7], v[24:25]
	v_add_f64 v[34:35], v[154:155], v[34:35]
	v_fma_f64 v[154:155], v[60:61], s[26:27], v[214:215]
	v_add_f64 v[30:31], v[250:251], v[30:31]
	v_add_f64 v[10:11], v[100:101], v[10:11]
	;; [unrolled: 1-line block ×3, first 2 shown]
	v_fma_f64 v[186:187], v[90:91], s[26:27], -v[94:95]
	v_add_f64 v[156:157], v[160:161], v[156:157]
	v_fma_f64 v[160:161], v[48:49], s[26:27], v[50:51]
	v_mul_f64 v[220:221], v[84:85], s[38:39]
	v_add_f64 v[124:125], v[128:129], v[124:125]
	v_fma_f64 v[128:129], v[90:91], s[30:31], -v[130:131]
	v_add_f64 v[152:153], v[152:153], v[194:195]
	v_fma_f64 v[194:195], v[48:49], s[30:31], v[254:255]
	v_mul_f64 v[234:235], v[84:85], s[18:19]
	v_add_f64 v[38:39], v[218:219], v[38:39]
	v_add_f64 v[42:43], v[102:103], v[42:43]
	v_mul_f64 v[102:103], v[92:93], s[48:49]
	v_mul_f64 v[92:93], v[92:93], s[38:39]
	v_add_f64 v[20:21], v[182:183], v[20:21]
	v_fma_f64 v[182:183], v[90:91], s[0:1], -v[242:243]
	v_fma_f64 v[218:219], v[82:83], s[16:17], v[136:137]
	v_add_f64 v[46:47], v[216:217], v[46:47]
	v_fma_f64 v[216:217], v[60:61], s[16:17], -v[138:139]
	v_add_f64 v[192:193], v[244:245], v[192:193]
	v_fma_f64 v[244:245], v[82:83], s[0:1], v[114:115]
	v_fma_f64 v[250:251], v[48:49], s[0:1], v[246:247]
	v_add_f64 v[16:17], v[16:17], v[134:135]
	v_fma_f64 v[206:207], v[90:91], s[16:17], v[206:207]
	v_fma_f64 v[198:199], v[48:49], s[16:17], -v[198:199]
	v_fma_f64 v[112:113], v[90:91], s[6:7], v[112:113]
	v_fma_f64 v[24:25], v[48:49], s[6:7], -v[24:25]
	;; [unrolled: 2-line block ×3, first 2 shown]
	v_add_f64 v[158:159], v[162:163], v[158:159]
	v_add_f64 v[162:163], v[168:169], v[164:165]
	;; [unrolled: 1-line block ×8, first 2 shown]
	v_fma_f64 v[14:15], v[90:91], s[0:1], v[242:243]
	v_add_f64 v[18:19], v[18:19], v[178:179]
	v_fma_f64 v[28:29], v[48:49], s[0:1], -v[246:247]
	v_fma_f64 v[98:99], v[52:53], s[26:27], v[98:99]
	v_fma_f64 v[90:91], v[90:91], s[26:27], v[94:95]
	v_add_f64 v[56:57], v[96:97], v[56:57]
	v_fma_f64 v[48:49], v[48:49], s[26:27], -v[50:51]
	v_add_f64 v[40:41], v[44:45], v[40:41]
	v_mul_f64 v[120:121], v[88:89], s[42:43]
	v_mul_f64 v[238:239], v[88:89], s[24:25]
	v_add_f64 v[32:33], v[232:233], v[32:33]
	v_fma_f64 v[232:233], v[86:87], s[0:1], -v[142:143]
	v_fma_f64 v[134:135], v[86:87], s[16:17], -v[188:189]
	v_fma_f64 v[100:101], v[52:53], s[16:17], v[122:123]
	v_add_f64 v[116:117], v[204:205], v[116:117]
	v_add_f64 v[36:37], v[252:253], v[36:37]
	;; [unrolled: 1-line block ×3, first 2 shown]
	v_mul_f64 v[154:155], v[62:63], s[24:25]
	v_add_f64 v[118:119], v[128:129], v[118:119]
	v_add_f64 v[128:129], v[194:195], v[132:133]
	v_fma_f64 v[132:133], v[86:87], s[10:11], -v[226:227]
	v_fma_f64 v[168:169], v[52:53], s[10:11], v[228:229]
	v_mul_f64 v[170:171], v[88:89], s[36:37]
	v_mul_f64 v[172:173], v[62:63], s[36:37]
	v_add_f64 v[30:31], v[182:183], v[30:31]
	v_mul_f64 v[180:181], v[88:89], s[44:45]
	v_mul_f64 v[182:183], v[62:63], s[44:45]
	v_add_f64 v[10:11], v[186:187], v[10:11]
	v_fma_f64 v[184:185], v[86:87], s[30:31], -v[92:93]
	v_mul_f64 v[88:89], v[88:89], s[22:23]
	v_add_f64 v[8:9], v[160:161], v[8:9]
	v_fma_f64 v[160:161], v[52:53], s[30:31], v[54:55]
	v_mul_f64 v[62:63], v[62:63], s[22:23]
	v_fma_f64 v[126:127], v[76:77], s[30:31], v[220:221]
	v_add_f64 v[38:39], v[218:219], v[38:39]
	v_add_f64 v[42:43], v[216:217], v[42:43]
	v_fma_f64 v[216:217], v[76:77], s[10:11], v[234:235]
	v_add_f64 v[192:193], v[244:245], v[192:193]
	v_add_f64 v[16:17], v[250:251], v[16:17]
	v_fma_f64 v[174:175], v[86:87], s[2:3], -v[102:103]
	v_fma_f64 v[178:179], v[52:53], s[2:3], v[190:191]
	v_add_f64 v[156:157], v[206:207], v[156:157]
	v_fma_f64 v[142:143], v[86:87], s[0:1], v[142:143]
	v_add_f64 v[158:159], v[198:199], v[158:159]
	v_fma_f64 v[186:187], v[52:53], s[0:1], -v[212:213]
	v_add_f64 v[112:113], v[112:113], v[162:163]
	v_fma_f64 v[94:95], v[86:87], s[16:17], v[188:189]
	v_add_f64 v[24:25], v[24:25], v[58:59]
	v_fma_f64 v[44:45], v[52:53], s[16:17], -v[122:123]
	;; [unrolled: 4-line block ×4, first 2 shown]
	v_mul_f64 v[210:211], v[66:67], s[14:15]
	v_mul_f64 v[150:151], v[66:67], s[36:37]
	v_add_f64 v[22:23], v[98:99], v[22:23]
	v_fma_f64 v[208:209], v[60:61], s[10:11], v[208:209]
	v_fma_f64 v[86:87], v[86:87], s[30:31], v[92:93]
	v_add_f64 v[56:57], v[90:91], v[56:57]
	v_fma_f64 v[52:53], v[52:53], s[30:31], -v[54:55]
	v_add_f64 v[40:41], v[48:49], v[40:41]
	v_mul_f64 v[222:223], v[66:67], s[38:39]
	v_mul_f64 v[200:201], v[84:85], s[14:15]
	;; [unrolled: 1-line block ×3, first 2 shown]
	v_fma_f64 v[138:139], v[60:61], s[16:17], v[138:139]
	v_add_f64 v[32:33], v[232:233], v[32:33]
	v_fma_f64 v[232:233], v[82:83], s[26:27], -v[120:121]
	v_add_f64 v[116:117], v[134:135], v[116:117]
	v_add_f64 v[36:37], v[100:101], v[36:37]
	v_fma_f64 v[100:101], v[82:83], s[2:3], -v[238:239]
	v_fma_f64 v[134:135], v[60:61], s[2:3], v[154:155]
	v_mul_f64 v[162:163], v[84:85], s[50:51]
	v_mul_f64 v[164:165], v[66:67], s[50:51]
	v_add_f64 v[118:119], v[132:133], v[118:119]
	v_add_f64 v[128:129], v[168:169], v[128:129]
	v_fma_f64 v[132:133], v[82:83], s[6:7], -v[170:171]
	v_fma_f64 v[166:167], v[60:61], s[6:7], v[172:173]
	v_mul_f64 v[168:169], v[84:85], s[34:35]
	v_mul_f64 v[188:189], v[66:67], s[34:35]
	v_mul_f64 v[190:191], v[84:85], s[28:29]
	v_add_f64 v[10:11], v[184:185], v[10:11]
	v_fma_f64 v[184:185], v[82:83], s[12:13], -v[88:89]
	v_mul_f64 v[84:85], v[84:85], s[24:25]
	v_add_f64 v[8:9], v[160:161], v[8:9]
	v_fma_f64 v[48:49], v[60:61], s[12:13], v[62:63]
	v_mul_f64 v[54:55], v[66:67], s[24:25]
	v_add_f64 v[38:39], v[126:127], v[38:39]
	v_add_f64 v[126:127], v[216:217], v[192:193]
	v_add_f64 v[30:31], v[174:175], v[30:31]
	v_add_f64 v[16:17], v[178:179], v[16:17]
	v_fma_f64 v[174:175], v[82:83], s[30:31], -v[180:181]
	v_fma_f64 v[178:179], v[60:61], s[30:31], v[182:183]
	v_mul_f64 v[192:193], v[66:67], s[28:29]
	v_fma_f64 v[196:197], v[82:83], s[10:11], -v[196:197]
	v_mul_f64 v[236:237], v[66:67], s[18:19]
	v_fma_f64 v[136:137], v[82:83], s[16:17], -v[136:137]
	v_fma_f64 v[114:115], v[82:83], s[0:1], -v[114:115]
	v_add_f64 v[66:67], v[142:143], v[156:157]
	v_add_f64 v[90:91], v[186:187], v[158:159]
	;; [unrolled: 1-line block ×8, first 2 shown]
	v_fma_f64 v[18:19], v[82:83], s[26:27], v[120:121]
	v_fma_f64 v[28:29], v[60:61], s[26:27], -v[214:215]
	v_fma_f64 v[58:59], v[82:83], s[2:3], v[238:239]
	v_fma_f64 v[94:95], v[60:61], s[2:3], -v[154:155]
	;; [unrolled: 2-line block ×4, first 2 shown]
	v_add_f64 v[202:203], v[224:225], v[202:203]
	v_fma_f64 v[224:225], v[64:65], s[0:1], -v[210:211]
	v_fma_f64 v[210:211], v[64:65], s[0:1], v[210:211]
	v_add_f64 v[22:23], v[208:209], v[22:23]
	v_fma_f64 v[130:131], v[64:65], s[6:7], v[150:151]
	v_fma_f64 v[82:83], v[82:83], s[12:13], v[88:89]
	v_add_f64 v[56:57], v[86:87], v[56:57]
	v_fma_f64 v[60:61], v[60:61], s[12:13], -v[62:63]
	v_add_f64 v[40:41], v[52:53], v[40:41]
	v_mul_f64 v[144:145], v[78:79], s[42:43]
	v_mul_f64 v[146:147], v[80:81], s[42:43]
	;; [unrolled: 1-line block ×6, first 2 shown]
	v_fma_f64 v[230:231], v[64:65], s[30:31], -v[222:223]
	v_fma_f64 v[222:223], v[64:65], s[30:31], v[222:223]
	v_add_f64 v[46:47], v[138:139], v[46:47]
	v_add_f64 v[32:33], v[232:233], v[32:33]
	v_fma_f64 v[102:103], v[76:77], s[6:7], -v[148:149]
	v_mul_f64 v[142:143], v[78:79], s[22:23]
	v_mul_f64 v[154:155], v[80:81], s[22:23]
	v_add_f64 v[100:101], v[100:101], v[116:117]
	v_add_f64 v[36:37], v[134:135], v[36:37]
	v_fma_f64 v[116:117], v[76:77], s[12:13], -v[162:163]
	v_fma_f64 v[134:135], v[64:65], s[12:13], v[164:165]
	v_mul_f64 v[156:157], v[78:79], s[18:19]
	v_mul_f64 v[158:159], v[80:81], s[18:19]
	v_add_f64 v[118:119], v[132:133], v[118:119]
	v_add_f64 v[128:129], v[166:167], v[128:129]
	v_fma_f64 v[132:133], v[76:77], s[26:27], -v[168:169]
	v_fma_f64 v[160:161], v[64:65], s[26:27], v[188:189]
	v_mul_f64 v[166:167], v[78:79], s[24:25]
	v_mul_f64 v[170:171], v[80:81], s[24:25]
	;; [unrolled: 1-line block ×4, first 2 shown]
	v_add_f64 v[10:11], v[184:185], v[10:11]
	v_fma_f64 v[172:173], v[76:77], s[2:3], -v[84:85]
	v_add_f64 v[8:9], v[48:49], v[8:9]
	v_fma_f64 v[48:49], v[64:65], s[2:3], v[54:55]
	v_mul_f64 v[78:79], v[78:79], s[14:15]
	v_mul_f64 v[80:81], v[80:81], s[14:15]
	v_add_f64 v[30:31], v[174:175], v[30:31]
	v_add_f64 v[16:17], v[178:179], v[16:17]
	v_fma_f64 v[52:53], v[76:77], s[16:17], -v[190:191]
	v_fma_f64 v[62:63], v[64:65], s[16:17], v[192:193]
	v_fma_f64 v[244:245], v[76:77], s[0:1], v[200:201]
	v_fma_f64 v[200:201], v[76:77], s[0:1], -v[200:201]
	v_add_f64 v[26:27], v[196:197], v[26:27]
	v_add_f64 v[108:109], v[136:137], v[108:109]
	v_fma_f64 v[136:137], v[64:65], s[10:11], -v[236:237]
	v_fma_f64 v[234:235], v[76:77], s[10:11], -v[234:235]
	v_fma_f64 v[236:237], v[64:65], s[10:11], v[236:237]
	v_add_f64 v[110:111], v[114:115], v[110:111]
	v_fma_f64 v[220:221], v[76:77], s[30:31], -v[220:221]
	v_add_f64 v[18:19], v[18:19], v[66:67]
	v_add_f64 v[28:29], v[28:29], v[90:91]
	;; [unrolled: 1-line block ×6, first 2 shown]
	v_fma_f64 v[66:67], v[76:77], s[6:7], v[148:149]
	v_fma_f64 v[90:91], v[64:65], s[6:7], -v[150:151]
	v_fma_f64 v[92:93], v[76:77], s[12:13], v[162:163]
	v_fma_f64 v[94:95], v[64:65], s[12:13], -v[164:165]
	;; [unrolled: 2-line block ×3, first 2 shown]
	v_add_f64 v[12:13], v[120:121], v[12:13]
	v_add_f64 v[14:15], v[122:123], v[14:15]
	v_fma_f64 v[120:121], v[76:77], s[16:17], v[190:191]
	v_fma_f64 v[122:123], v[64:65], s[16:17], -v[192:193]
	v_add_f64 v[162:163], v[210:211], v[22:23]
	v_fma_f64 v[22:23], v[76:77], s[2:3], v[84:85]
	v_add_f64 v[56:57], v[82:83], v[56:57]
	v_add_f64 v[76:77], v[130:131], v[34:35]
	v_fma_f64 v[34:35], v[64:65], s[2:3], -v[54:55]
	v_add_f64 v[40:41], v[60:61], v[40:41]
	v_fma_f64 v[218:219], v[74:75], s[26:27], -v[146:147]
	v_fma_f64 v[146:147], v[74:75], s[26:27], v[146:147]
	v_add_f64 v[46:47], v[222:223], v[46:47]
	v_add_f64 v[32:33], v[102:103], v[32:33]
	;; [unrolled: 1-line block ×8, first 2 shown]
	v_fma_f64 v[134:135], v[72:73], s[0:1], -v[78:79]
	v_fma_f64 v[160:161], v[74:75], s[0:1], v[80:81]
	v_add_f64 v[42:43], v[230:231], v[42:43]
	v_add_f64 v[52:53], v[52:53], v[30:31]
	;; [unrolled: 1-line block ×3, first 2 shown]
	v_fma_f64 v[128:129], v[72:73], s[6:7], -v[86:87]
	v_fma_f64 v[130:131], v[74:75], s[6:7], v[88:89]
	v_fma_f64 v[98:99], v[72:73], s[26:27], v[144:145]
	v_fma_f64 v[36:37], v[72:73], s[10:11], -v[156:157]
	v_fma_f64 v[116:117], v[72:73], s[2:3], -v[166:167]
	v_fma_f64 v[118:119], v[74:75], s[2:3], v[170:171]
	v_fma_f64 v[54:55], v[72:73], s[12:13], -v[142:143]
	v_fma_f64 v[84:85], v[74:75], s[10:11], v[158:159]
	v_fma_f64 v[60:61], v[74:75], s[12:13], v[154:155]
	v_fma_f64 v[150:151], v[74:75], s[16:17], -v[140:141]
	v_add_f64 v[26:27], v[200:201], v[26:27]
	v_fma_f64 v[164:165], v[72:73], s[16:17], -v[176:177]
	v_fma_f64 v[140:141], v[74:75], s[16:17], v[140:141]
	v_fma_f64 v[138:139], v[72:73], s[30:31], v[240:241]
	v_fma_f64 v[114:115], v[74:75], s[30:31], -v[248:249]
	v_fma_f64 v[240:241], v[72:73], s[30:31], -v[240:241]
	v_fma_f64 v[248:249], v[74:75], s[30:31], v[248:249]
	v_add_f64 v[110:111], v[234:235], v[110:111]
	v_add_f64 v[124:125], v[236:237], v[124:125]
	v_fma_f64 v[144:145], v[72:73], s[26:27], -v[144:145]
	v_add_f64 v[108:109], v[220:221], v[108:109]
	v_add_f64 v[136:137], v[136:137], v[202:203]
	;; [unrolled: 1-line block ×4, first 2 shown]
	v_fma_f64 v[148:149], v[72:73], s[16:17], v[176:177]
	v_add_f64 v[66:67], v[66:67], v[18:19]
	v_add_f64 v[90:91], v[90:91], v[28:29]
	;; [unrolled: 1-line block ×6, first 2 shown]
	v_fma_f64 v[50:51], v[72:73], s[12:13], v[142:143]
	v_fma_f64 v[154:155], v[74:75], s[12:13], -v[154:155]
	v_add_f64 v[112:113], v[120:121], v[12:13]
	v_add_f64 v[120:121], v[122:123], v[14:15]
	v_fma_f64 v[122:123], v[72:73], s[10:11], v[156:157]
	v_fma_f64 v[156:157], v[74:75], s[10:11], -v[158:159]
	v_fma_f64 v[142:143], v[72:73], s[2:3], v[166:167]
	v_fma_f64 v[86:87], v[72:73], s[6:7], v[86:87]
	;; [unrolled: 1-line block ×3, first 2 shown]
	v_fma_f64 v[78:79], v[74:75], s[2:3], -v[170:171]
	v_fma_f64 v[88:89], v[74:75], s[6:7], -v[88:89]
	v_add_f64 v[158:159], v[22:23], v[56:57]
	v_fma_f64 v[74:75], v[74:75], s[0:1], -v[80:81]
	v_add_f64 v[80:81], v[34:35], v[40:41]
	v_add_f64 v[2:3], v[6:7], v[2:3]
	;; [unrolled: 1-line block ×34, first 2 shown]
	v_mul_u32_u24_e32 v72, 0x110, v68
	v_add_f64 v[64:65], v[74:75], v[80:81]
	s_delay_alu instid0(VALU_DEP_2)
	v_add3_u32 v72, 0, v72, v104
	ds_store_b128 v72, v[0:3]
	ds_store_b128 v72, v[44:47] offset:16
	ds_store_b128 v72, v[40:43] offset:32
	;; [unrolled: 1-line block ×16, first 2 shown]
.LBB0_19:
	s_or_b32 exec_lo, exec_lo, s33
	v_add_nc_u16 v2, v68, 0x66
	v_and_b32_e32 v0, 0xff, v68
	v_add_nc_u32_e32 v3, 0xcc, v68
	v_add_nc_u32_e32 v1, 0x132, v68
	s_waitcnt lgkmcnt(0)
	v_and_b32_e32 v13, 0xff, v2
	v_mul_lo_u16 v0, 0xf1, v0
	v_and_b32_e32 v5, 0xffff, v3
	s_barrier
	buffer_gl0_inv
	v_mul_lo_u16 v4, 0xf1, v13
	v_lshrrev_b16 v6, 12, v0
	v_and_b32_e32 v0, 0xffff, v1
	v_mul_u32_u24_e32 v8, 0xf0f1, v5
	v_cmp_gt_u32_e64 s0, 51, v68
	v_lshrrev_b16 v7, 12, v4
	v_mul_lo_u16 v4, v6, 17
	v_mul_u32_u24_e32 v0, 0xf0f1, v0
	v_lshrrev_b32_e32 v9, 20, v8
	v_mul_lo_u16 v13, 0xa1, v13
	v_mul_lo_u16 v8, v7, 17
	v_sub_nc_u16 v4, v68, v4
	v_lshrrev_b32_e32 v12, 20, v0
	v_mul_lo_u16 v0, v9, 17
	s_mov_b32 s6, 0xe8584caa
	v_sub_nc_u16 v8, v2, v8
	v_and_b32_e32 v10, 0xff, v4
	v_mul_lo_u16 v4, v12, 17
	v_sub_nc_u16 v0, v3, v0
	s_mov_b32 s7, 0xbfebb67a
	v_and_b32_e32 v8, 0xff, v8
	v_lshlrev_b32_e32 v14, 5, v10
	v_sub_nc_u16 v1, v1, v4
	v_and_b32_e32 v11, 0xffff, v0
	v_subrev_nc_u32_e32 v4, 51, v68
	v_lshlrev_b32_e32 v0, 5, v8
	s_clause 0x1
	global_load_b128 v[15:18], v14, s[4:5]
	global_load_b128 v[19:22], v14, s[4:5] offset:16
	v_and_b32_e32 v14, 0xffff, v1
	v_lshlrev_b32_e32 v1, 5, v11
	v_cndmask_b32_e64 v4, v4, v68, s0
	s_clause 0x1
	global_load_b128 v[23:26], v0, s[4:5]
	global_load_b128 v[27:30], v0, s[4:5] offset:16
	s_mov_b32 s3, 0x3febb67a
	v_lshlrev_b32_e32 v0, 5, v14
	s_clause 0x3
	global_load_b128 v[31:34], v1, s[4:5]
	global_load_b128 v[35:38], v1, s[4:5] offset:16
	global_load_b128 v[39:42], v0, s[4:5]
	global_load_b128 v[43:46], v0, s[4:5] offset:16
	ds_load_b128 v[47:50], v69 offset:6528
	ds_load_b128 v[51:54], v69 offset:13056
	;; [unrolled: 1-line block ×8, first 2 shown]
	s_mov_b32 s2, s6
	v_and_b32_e32 v7, 0xffff, v7
	v_lshlrev_b32_e32 v10, 4, v10
	v_mad_u32_u24 v9, 0x330, v9, 0
	v_mad_u32_u24 v12, 0x330, v12, 0
	s_waitcnt vmcnt(7) lgkmcnt(7)
	v_mul_f64 v[0:1], v[49:50], v[17:18]
	v_mul_f64 v[17:18], v[47:48], v[17:18]
	s_waitcnt vmcnt(6) lgkmcnt(6)
	v_mul_f64 v[84:85], v[53:54], v[21:22]
	v_mul_f64 v[21:22], v[51:52], v[21:22]
	;; [unrolled: 3-line block ×8, first 2 shown]
	v_fma_f64 v[0:1], v[47:48], v[15:16], v[0:1]
	v_fma_f64 v[47:48], v[49:50], v[15:16], -v[17:18]
	v_fma_f64 v[49:50], v[51:52], v[19:20], v[84:85]
	v_fma_f64 v[51:52], v[53:54], v[19:20], -v[21:22]
	;; [unrolled: 2-line block ×8, first 2 shown]
	ds_load_b128 v[15:18], v106
	ds_load_b128 v[19:22], v69 offset:1632
	ds_load_b128 v[23:26], v69 offset:3264
	;; [unrolled: 1-line block ×3, first 2 shown]
	s_waitcnt lgkmcnt(0)
	s_barrier
	buffer_gl0_inv
	v_add_f64 v[82:83], v[15:16], v[0:1]
	v_add_f64 v[45:46], v[0:1], v[49:50]
	;; [unrolled: 1-line block ×3, first 2 shown]
	v_add_f64 v[84:85], v[47:48], -v[51:52]
	v_add_f64 v[47:48], v[17:18], v[47:48]
	v_add_f64 v[65:66], v[53:54], v[57:58]
	;; [unrolled: 1-line block ×4, first 2 shown]
	v_add_f64 v[98:99], v[0:1], -v[49:50]
	v_add_f64 v[74:75], v[61:62], v[33:34]
	v_add_f64 v[76:77], v[31:32], v[35:36]
	;; [unrolled: 1-line block ×8, first 2 shown]
	v_add_f64 v[55:56], v[55:56], -v[59:60]
	v_add_f64 v[53:54], v[53:54], -v[57:58]
	v_add_f64 v[96:97], v[29:30], v[39:40]
	v_add_f64 v[100:101], v[31:32], -v[35:36]
	v_add_f64 v[61:62], v[61:62], -v[33:34]
	;; [unrolled: 1-line block ×4, first 2 shown]
	v_mov_b32_e32 v1, 0
	v_mul_i32_i24_e32 v0, 3, v4
	v_fma_f64 v[45:46], v[45:46], -0.5, v[15:16]
	v_fma_f64 v[63:64], v[63:64], -0.5, v[17:18]
	v_mul_u32_u24_e32 v15, 0xa0a1, v5
	v_and_b32_e32 v16, 0xffff, v6
	v_fma_f64 v[65:66], v[65:66], -0.5, v[19:20]
	v_fma_f64 v[72:73], v[72:73], -0.5, v[21:22]
	v_lshlrev_b64 v[5:6], 4, v[0:1]
	v_lshrrev_b16 v0, 13, v13
	v_fma_f64 v[74:75], v[74:75], -0.5, v[23:24]
	v_fma_f64 v[76:77], v[76:77], -0.5, v[25:26]
	v_lshrrev_b32_e32 v67, 21, v15
	v_mad_u32_u24 v13, 0x330, v16, 0
	v_fma_f64 v[78:79], v[78:79], -0.5, v[27:28]
	v_fma_f64 v[80:81], v[80:81], -0.5, v[29:30]
	v_add_f64 v[15:16], v[82:83], v[49:50]
	v_add_f64 v[17:18], v[47:48], v[51:52]
	;; [unrolled: 1-line block ×8, first 2 shown]
	v_fma_f64 v[31:32], v[84:85], s[6:7], v[45:46]
	v_fma_f64 v[33:34], v[98:99], s[2:3], v[63:64]
	;; [unrolled: 1-line block ×16, first 2 shown]
	v_mul_lo_u16 v63, v0, 51
	v_mul_lo_u16 v64, v67, 51
	v_and_b32_e32 v0, 0xffff, v0
	s_delay_alu instid0(VALU_DEP_3) | instskip(NEXT) | instid1(VALU_DEP_3)
	v_sub_nc_u16 v63, v2, v63
	v_sub_nc_u16 v64, v3, v64
	v_add_co_u32 v2, s0, s4, v5
	v_mad_u32_u24 v5, 0x330, v7, 0
	s_delay_alu instid0(VALU_DEP_4)
	v_and_b32_e32 v102, 0xff, v63
	v_lshlrev_b32_e32 v7, 4, v8
	v_add_co_ci_u32_e64 v3, s0, s5, v6, s0
	v_and_b32_e32 v103, 0xffff, v64
	v_add3_u32 v6, v13, v10, v104
	v_lshlrev_b32_e32 v8, 4, v11
	v_lshlrev_b32_e32 v10, 4, v14
	v_mul_u32_u24_e32 v13, 3, v102
	v_add3_u32 v5, v5, v7, v104
	v_cmp_lt_u32_e64 s0, 50, v68
	v_add3_u32 v7, v9, v8, v104
	v_add3_u32 v8, v12, v10, v104
	ds_store_b128 v6, v[15:18]
	ds_store_b128 v6, v[31:34] offset:272
	ds_store_b128 v6, v[35:38] offset:544
	ds_store_b128 v5, v[19:22]
	ds_store_b128 v5, v[39:42] offset:272
	ds_store_b128 v5, v[43:46] offset:544
	;; [unrolled: 3-line block ×4, first 2 shown]
	v_lshlrev_b32_e32 v25, 4, v13
	v_mul_u32_u24_e32 v21, 3, v103
	s_waitcnt lgkmcnt(0)
	s_barrier
	buffer_gl0_inv
	s_clause 0x3
	global_load_b128 v[5:8], v[2:3], off offset:560
	global_load_b128 v[9:12], v[2:3], off offset:544
	;; [unrolled: 1-line block ×3, first 2 shown]
	global_load_b128 v[17:20], v25, s[4:5] offset:544
	v_lshlrev_b32_e32 v2, 4, v21
	s_clause 0x4
	global_load_b128 v[21:24], v25, s[4:5] offset:560
	global_load_b128 v[25:28], v25, s[4:5] offset:576
	;; [unrolled: 1-line block ×5, first 2 shown]
	ds_load_b128 v[41:44], v69 offset:4896
	ds_load_b128 v[45:48], v69 offset:9792
	;; [unrolled: 1-line block ×10, first 2 shown]
	v_mad_u32_u24 v0, 0xcc0, v0, 0
	s_waitcnt vmcnt(8) lgkmcnt(8)
	v_mul_f64 v[65:66], v[47:48], v[7:8]
	s_waitcnt vmcnt(7)
	v_mul_f64 v[2:3], v[43:44], v[11:12]
	v_mul_f64 v[11:12], v[41:42], v[11:12]
	;; [unrolled: 1-line block ×3, first 2 shown]
	s_waitcnt vmcnt(6) lgkmcnt(7)
	v_mul_f64 v[88:89], v[51:52], v[15:16]
	v_mul_f64 v[15:16], v[49:50], v[15:16]
	s_waitcnt vmcnt(5) lgkmcnt(6)
	v_mul_f64 v[90:91], v[55:56], v[19:20]
	v_mul_f64 v[19:20], v[53:54], v[19:20]
	;; [unrolled: 3-line block ×7, first 2 shown]
	v_fma_f64 v[2:3], v[41:42], v[9:10], v[2:3]
	v_fma_f64 v[41:42], v[43:44], v[9:10], -v[11:12]
	v_fma_f64 v[43:44], v[45:46], v[5:6], v[65:66]
	v_fma_f64 v[45:46], v[47:48], v[5:6], -v[7:8]
	;; [unrolled: 2-line block ×9, first 2 shown]
	ds_load_b128 v[5:8], v106
	ds_load_b128 v[9:12], v69 offset:1632
	s_waitcnt lgkmcnt(0)
	s_barrier
	buffer_gl0_inv
	v_add_f64 v[39:40], v[5:6], -v[43:44]
	v_add_f64 v[43:44], v[7:8], -v[45:46]
	;; [unrolled: 1-line block ×12, first 2 shown]
	v_fma_f64 v[35:36], v[5:6], 2.0, -v[39:40]
	v_fma_f64 v[55:56], v[7:8], 2.0, -v[43:44]
	;; [unrolled: 1-line block ×4, first 2 shown]
	v_add_f64 v[5:6], v[39:40], v[13:14]
	v_add_f64 v[7:8], v[43:44], -v[45:46]
	v_fma_f64 v[41:42], v[9:10], 2.0, -v[47:48]
	v_fma_f64 v[57:58], v[11:12], 2.0, -v[49:50]
	;; [unrolled: 1-line block ×4, first 2 shown]
	v_add_f64 v[9:10], v[47:48], v[19:20]
	v_fma_f64 v[59:60], v[84:85], 2.0, -v[51:52]
	v_fma_f64 v[61:62], v[86:87], 2.0, -v[53:54]
	;; [unrolled: 1-line block ×4, first 2 shown]
	v_add_f64 v[23:24], v[53:54], -v[23:24]
	v_add_f64 v[13:14], v[35:36], -v[2:3]
	;; [unrolled: 1-line block ×3, first 2 shown]
	v_cndmask_b32_e64 v2, 0, 0xcc0, s0
	v_fma_f64 v[31:32], v[43:44], 2.0, -v[7:8]
	v_mul_u32_u24_e32 v3, 5, v68
	v_add_f64 v[17:18], v[41:42], -v[11:12]
	v_add_f64 v[19:20], v[57:58], -v[33:34]
	;; [unrolled: 1-line block ×3, first 2 shown]
	v_add_f64 v[21:22], v[51:52], v[25:26]
	v_fma_f64 v[33:34], v[47:48], 2.0, -v[9:10]
	v_add_nc_u32_e32 v2, 0, v2
	v_add_f64 v[25:26], v[59:60], -v[27:28]
	v_add_f64 v[27:28], v[61:62], -v[29:30]
	v_fma_f64 v[29:30], v[39:40], 2.0, -v[5:6]
	v_fma_f64 v[47:48], v[53:54], 2.0, -v[23:24]
	v_lshlrev_b32_e32 v53, 4, v3
	v_lshlrev_b32_e32 v3, 4, v4
	v_mad_u32_u24 v4, 0xcc0, v67, 0
	v_lshlrev_b32_e32 v54, 4, v102
	s_delay_alu instid0(VALU_DEP_3) | instskip(NEXT) | instid1(VALU_DEP_2)
	v_add3_u32 v2, v2, v3, v104
	v_add3_u32 v0, v0, v54, v104
	v_fma_f64 v[37:38], v[35:36], 2.0, -v[13:14]
	v_fma_f64 v[39:40], v[55:56], 2.0, -v[15:16]
	v_lshlrev_b32_e32 v55, 4, v103
	v_add_co_u32 v56, s0, s4, v53
	v_fma_f64 v[41:42], v[41:42], 2.0, -v[17:18]
	v_fma_f64 v[43:44], v[57:58], 2.0, -v[19:20]
	;; [unrolled: 1-line block ×4, first 2 shown]
	v_add3_u32 v3, v4, v55, v104
	v_add_co_ci_u32_e64 v57, null, s5, 0, s0
	v_fma_f64 v[49:50], v[59:60], 2.0, -v[25:26]
	v_fma_f64 v[51:52], v[61:62], 2.0, -v[27:28]
	ds_store_b128 v2, v[13:16] offset:1632
	ds_store_b128 v2, v[5:8] offset:2448
	ds_store_b128 v2, v[37:40]
	ds_store_b128 v2, v[29:32] offset:816
	ds_store_b128 v0, v[41:44]
	ds_store_b128 v0, v[33:36] offset:816
	ds_store_b128 v0, v[17:20] offset:1632
	;; [unrolled: 1-line block ×3, first 2 shown]
	ds_store_b128 v3, v[49:52]
	ds_store_b128 v3, v[45:48] offset:816
	ds_store_b128 v3, v[25:28] offset:1632
	;; [unrolled: 1-line block ×3, first 2 shown]
	s_waitcnt lgkmcnt(0)
	s_barrier
	buffer_gl0_inv
	s_clause 0x1
	global_load_b128 v[2:5], v53, s[4:5] offset:3024
	global_load_b128 v[6:9], v53, s[4:5] offset:3056
	v_add_co_u32 v38, s0, 0x1fe0, v56
	s_delay_alu instid0(VALU_DEP_1)
	v_add_co_ci_u32_e64 v39, s0, 0, v57, s0
	s_clause 0x7
	global_load_b128 v[10:13], v[38:39], off offset:3024
	global_load_b128 v[14:17], v[38:39], off offset:3056
	global_load_b128 v[18:21], v53, s[4:5] offset:2992
	global_load_b128 v[22:25], v[38:39], off offset:2992
	global_load_b128 v[26:29], v53, s[4:5] offset:3008
	global_load_b128 v[30:33], v53, s[4:5] offset:3040
	global_load_b128 v[34:37], v[38:39], off offset:3008
	global_load_b128 v[38:41], v[38:39], off offset:3040
	ds_load_b128 v[42:45], v69 offset:9792
	ds_load_b128 v[46:49], v69 offset:16320
	;; [unrolled: 1-line block ×6, first 2 shown]
	v_add_nc_u32_e32 v0, v107, v104
	s_waitcnt vmcnt(9) lgkmcnt(5)
	v_mul_f64 v[66:67], v[42:43], v[4:5]
	s_waitcnt vmcnt(8) lgkmcnt(4)
	v_mul_f64 v[72:73], v[46:47], v[8:9]
	;; [unrolled: 2-line block ×5, first 2 shown]
	v_mul_f64 v[4:5], v[44:45], v[4:5]
	v_mul_f64 v[8:9], v[48:49], v[8:9]
	;; [unrolled: 1-line block ×5, first 2 shown]
	v_fma_f64 v[44:45], v[44:45], v[2:3], -v[66:67]
	v_fma_f64 v[48:49], v[48:49], v[6:7], -v[72:73]
	s_waitcnt vmcnt(4) lgkmcnt(0)
	v_mul_f64 v[66:67], v[62:63], v[24:25]
	v_fma_f64 v[52:53], v[52:53], v[10:11], -v[74:75]
	v_fma_f64 v[56:57], v[56:57], v[14:15], -v[76:77]
	ds_load_b128 v[72:75], v69 offset:6528
	ds_load_b128 v[76:79], v69 offset:13056
	;; [unrolled: 1-line block ×4, first 2 shown]
	v_fma_f64 v[42:43], v[42:43], v[2:3], v[4:5]
	v_fma_f64 v[46:47], v[46:47], v[6:7], v[8:9]
	v_fma_f64 v[60:61], v[60:61], v[18:19], -v[88:89]
	v_mul_f64 v[24:25], v[64:65], v[24:25]
	v_fma_f64 v[10:11], v[50:51], v[10:11], v[12:13]
	v_fma_f64 v[12:13], v[54:55], v[14:15], v[16:17]
	;; [unrolled: 1-line block ×3, first 2 shown]
	s_waitcnt vmcnt(3) lgkmcnt(3)
	v_mul_f64 v[90:91], v[74:75], v[28:29]
	v_mul_f64 v[28:29], v[72:73], v[28:29]
	s_waitcnt vmcnt(2) lgkmcnt(2)
	v_mul_f64 v[92:93], v[78:79], v[32:33]
	v_mul_f64 v[32:33], v[76:77], v[32:33]
	;; [unrolled: 3-line block ×4, first 2 shown]
	v_add_f64 v[2:3], v[44:45], v[48:49]
	v_fma_f64 v[14:15], v[64:65], v[22:23], -v[66:67]
	v_add_f64 v[16:17], v[52:53], v[56:57]
	v_add_f64 v[20:21], v[42:43], v[46:47]
	v_fma_f64 v[22:23], v[62:63], v[22:23], v[24:25]
	v_add_f64 v[62:63], v[44:45], -v[48:49]
	v_add_f64 v[24:25], v[10:11], -v[12:13]
	v_fma_f64 v[40:41], v[72:73], v[26:27], v[90:91]
	v_fma_f64 v[26:27], v[74:75], v[26:27], -v[28:29]
	v_fma_f64 v[28:29], v[76:77], v[30:31], v[92:93]
	v_fma_f64 v[30:31], v[78:79], v[30:31], -v[32:33]
	v_add_f64 v[32:33], v[42:43], -v[46:47]
	v_fma_f64 v[50:51], v[80:81], v[34:35], v[4:5]
	v_fma_f64 v[34:35], v[82:83], v[34:35], -v[6:7]
	v_fma_f64 v[54:55], v[84:85], v[38:39], v[8:9]
	v_fma_f64 v[36:37], v[86:87], v[38:39], -v[36:37]
	v_add_f64 v[6:7], v[10:11], v[12:13]
	v_add_f64 v[74:75], v[52:53], -v[56:57]
	v_fma_f64 v[2:3], v[2:3], -0.5, v[60:61]
	v_fma_f64 v[16:17], v[16:17], -0.5, v[14:15]
	v_add_f64 v[14:15], v[14:15], v[52:53]
	v_fma_f64 v[20:21], v[20:21], -0.5, v[18:19]
	v_add_f64 v[18:19], v[18:19], v[42:43]
	v_add_f64 v[42:43], v[60:61], v[44:45]
	;; [unrolled: 1-line block ×5, first 2 shown]
	v_add_f64 v[80:81], v[26:27], -v[30:31]
	v_add_f64 v[66:67], v[50:51], v[54:55]
	v_add_f64 v[72:73], v[34:35], v[36:37]
	v_fma_f64 v[76:77], v[6:7], -0.5, v[22:23]
	ds_load_b128 v[6:9], v69 offset:1632
	v_add_f64 v[60:61], v[34:35], -v[36:37]
	v_fma_f64 v[64:65], v[32:33], s[2:3], v[2:3]
	v_fma_f64 v[32:33], v[32:33], s[6:7], v[2:3]
	ds_load_b128 v[2:5], v106
	v_fma_f64 v[78:79], v[24:25], s[2:3], v[16:17]
	v_fma_f64 v[16:17], v[24:25], s[6:7], v[16:17]
	s_waitcnt lgkmcnt(0)
	v_fma_f64 v[22:23], v[62:63], s[6:7], v[20:21]
	v_fma_f64 v[20:21], v[62:63], s[2:3], v[20:21]
	v_add_f64 v[18:19], v[18:19], v[46:47]
	s_barrier
	buffer_gl0_inv
	v_add_f64 v[44:45], v[6:7], v[50:51]
	v_add_f64 v[34:35], v[8:9], v[34:35]
	v_add_f64 v[50:51], v[50:51], -v[54:55]
	v_add_f64 v[24:25], v[2:3], v[40:41]
	v_add_f64 v[26:27], v[4:5], v[26:27]
	v_add_f64 v[40:41], v[40:41], -v[28:29]
	v_fma_f64 v[2:3], v[38:39], -0.5, v[2:3]
	v_fma_f64 v[4:5], v[58:59], -0.5, v[4:5]
	;; [unrolled: 1-line block ×4, first 2 shown]
	v_fma_f64 v[62:63], v[74:75], s[6:7], v[76:77]
	v_mul_f64 v[38:39], v[64:65], s[6:7]
	v_mul_f64 v[58:59], v[64:65], 0.5
	v_mul_f64 v[52:53], v[32:33], s[6:7]
	v_mul_f64 v[32:33], v[32:33], -0.5
	v_fma_f64 v[64:65], v[74:75], s[2:3], v[76:77]
	v_mul_f64 v[66:67], v[78:79], s[6:7]
	v_mul_f64 v[74:75], v[78:79], 0.5
	v_mul_f64 v[72:73], v[16:17], s[6:7]
	v_mul_f64 v[16:17], v[16:17], -0.5
	v_add_f64 v[34:35], v[34:35], v[36:37]
	v_add_f64 v[36:37], v[10:11], v[12:13]
	;; [unrolled: 1-line block ×7, first 2 shown]
	v_fma_f64 v[44:45], v[80:81], s[6:7], v[2:3]
	v_fma_f64 v[48:49], v[40:41], s[2:3], v[4:5]
	;; [unrolled: 1-line block ×5, first 2 shown]
	v_fma_f64 v[38:39], v[22:23], 0.5, v[38:39]
	v_fma_f64 v[54:55], v[22:23], s[2:3], v[58:59]
	v_fma_f64 v[52:53], v[20:21], -0.5, v[52:53]
	v_fma_f64 v[32:33], v[20:21], s[2:3], v[32:33]
	v_fma_f64 v[58:59], v[60:61], s[2:3], v[6:7]
	;; [unrolled: 1-line block ×3, first 2 shown]
	v_fma_f64 v[66:67], v[62:63], 0.5, v[66:67]
	v_fma_f64 v[62:63], v[62:63], s[2:3], v[74:75]
	v_fma_f64 v[50:51], v[50:51], s[6:7], v[8:9]
	v_fma_f64 v[72:73], v[64:65], -0.5, v[72:73]
	v_fma_f64 v[64:65], v[64:65], s[2:3], v[16:17]
	v_add_f64 v[2:3], v[24:25], v[18:19]
	v_add_f64 v[6:7], v[24:25], -v[18:19]
	v_add_f64 v[4:5], v[26:27], v[28:29]
	v_add_f64 v[10:11], v[30:31], v[36:37]
	;; [unrolled: 1-line block ×3, first 2 shown]
	v_add_f64 v[8:9], v[26:27], -v[28:29]
	v_add_f64 v[14:15], v[30:31], -v[36:37]
	v_add_f64 v[16:17], v[34:35], -v[42:43]
	v_add_f64 v[18:19], v[44:45], v[38:39]
	v_add_f64 v[20:21], v[48:49], v[54:55]
	;; [unrolled: 1-line block ×4, first 2 shown]
	v_add_f64 v[26:27], v[44:45], -v[38:39]
	v_add_f64 v[28:29], v[48:49], -v[54:55]
	;; [unrolled: 1-line block ×4, first 2 shown]
	v_add_f64 v[34:35], v[56:57], v[66:67]
	v_add_f64 v[36:37], v[60:61], v[62:63]
	v_add_f64 v[38:39], v[58:59], v[72:73]
	v_add_f64 v[40:41], v[50:51], v[64:65]
	v_add_f64 v[42:43], v[56:57], -v[66:67]
	v_add_f64 v[44:45], v[60:61], -v[62:63]
	v_add_f64 v[46:47], v[58:59], -v[72:73]
	v_add_f64 v[48:49], v[50:51], -v[64:65]
	ds_store_b128 v69, v[2:5]
	ds_store_b128 v69, v[10:13] offset:1632
	ds_store_b128 v69, v[18:21] offset:3264
	ds_store_b128 v69, v[22:25] offset:6528
	ds_store_b128 v69, v[6:9] offset:9792
	ds_store_b128 v69, v[26:29] offset:13056
	ds_store_b128 v69, v[30:33] offset:16320
	ds_store_b128 v0, v[34:37] offset:4896
	ds_store_b128 v0, v[38:41] offset:8160
	ds_store_b128 v0, v[14:17] offset:11424
	ds_store_b128 v0, v[42:45] offset:14688
	ds_store_b128 v0, v[46:49] offset:17952
	s_waitcnt lgkmcnt(0)
	s_barrier
	buffer_gl0_inv
	s_and_saveexec_b32 s0, vcc_lo
	s_cbranch_execz .LBB0_21
; %bb.20:
	v_lshl_add_u32 v36, v68, 4, v105
	v_dual_mov_b32 v69, v1 :: v_dual_add_nc_u32 v0, 0x66, v68
	v_add_co_u32 v37, vcc_lo, s8, v70
	ds_load_b128 v[2:5], v36
	ds_load_b128 v[6:9], v36 offset:1632
	v_lshlrev_b64 v[10:11], 4, v[68:69]
	v_lshlrev_b64 v[12:13], 4, v[0:1]
	v_add_nc_u32_e32 v0, 0xcc, v68
	v_add_co_ci_u32_e32 v38, vcc_lo, s9, v71, vcc_lo
	s_delay_alu instid0(VALU_DEP_4) | instskip(NEXT) | instid1(VALU_DEP_3)
	v_add_co_u32 v10, vcc_lo, v37, v10
	v_lshlrev_b64 v[14:15], 4, v[0:1]
	s_delay_alu instid0(VALU_DEP_3) | instskip(SKIP_4) | instid1(VALU_DEP_3)
	v_add_co_ci_u32_e32 v11, vcc_lo, v38, v11, vcc_lo
	v_add_co_u32 v12, vcc_lo, v37, v12
	v_add_nc_u32_e32 v0, 0x132, v68
	v_add_co_ci_u32_e32 v13, vcc_lo, v38, v13, vcc_lo
	v_add_co_u32 v20, vcc_lo, v37, v14
	v_lshlrev_b64 v[18:19], 4, v[0:1]
	s_waitcnt lgkmcnt(1)
	global_store_b128 v[10:11], v[2:5], off
	s_waitcnt lgkmcnt(0)
	global_store_b128 v[12:13], v[6:9], off
	v_add_nc_u32_e32 v0, 0x198, v68
	v_add_co_ci_u32_e32 v21, vcc_lo, v38, v15, vcc_lo
	ds_load_b128 v[2:5], v36 offset:3264
	ds_load_b128 v[6:9], v36 offset:4896
	;; [unrolled: 1-line block ×4, first 2 shown]
	v_lshlrev_b64 v[22:23], 4, v[0:1]
	v_add_nc_u32_e32 v0, 0x1fe, v68
	v_add_co_u32 v18, vcc_lo, v37, v18
	v_add_co_ci_u32_e32 v19, vcc_lo, v38, v19, vcc_lo
	s_delay_alu instid0(VALU_DEP_3) | instskip(SKIP_3) | instid1(VALU_DEP_3)
	v_lshlrev_b64 v[24:25], 4, v[0:1]
	v_add_nc_u32_e32 v0, 0x264, v68
	v_add_co_u32 v22, vcc_lo, v37, v22
	v_add_co_ci_u32_e32 v23, vcc_lo, v38, v23, vcc_lo
	v_lshlrev_b64 v[26:27], 4, v[0:1]
	v_add_nc_u32_e32 v0, 0x2ca, v68
	v_add_co_u32 v24, vcc_lo, v37, v24
	v_add_co_ci_u32_e32 v25, vcc_lo, v38, v25, vcc_lo
	s_waitcnt lgkmcnt(3)
	global_store_b128 v[20:21], v[2:5], off
	s_waitcnt lgkmcnt(2)
	global_store_b128 v[18:19], v[6:9], off
	;; [unrolled: 2-line block ×4, first 2 shown]
	v_lshlrev_b64 v[10:11], 4, v[0:1]
	v_add_nc_u32_e32 v0, 0x330, v68
	v_add_co_u32 v26, vcc_lo, v37, v26
	v_add_co_ci_u32_e32 v27, vcc_lo, v38, v27, vcc_lo
	s_delay_alu instid0(VALU_DEP_3) | instskip(SKIP_3) | instid1(VALU_DEP_4)
	v_lshlrev_b64 v[12:13], 4, v[0:1]
	v_add_co_u32 v28, vcc_lo, v37, v10
	v_add_nc_u32_e32 v0, 0x396, v68
	v_add_co_ci_u32_e32 v29, vcc_lo, v38, v11, vcc_lo
	v_add_co_u32 v32, vcc_lo, v37, v12
	ds_load_b128 v[2:5], v36 offset:9792
	ds_load_b128 v[6:9], v36 offset:11424
	v_add_co_ci_u32_e32 v33, vcc_lo, v38, v13, vcc_lo
	ds_load_b128 v[10:13], v36 offset:13056
	ds_load_b128 v[14:17], v36 offset:14688
	;; [unrolled: 1-line block ×4, first 2 shown]
	v_lshlrev_b64 v[30:31], 4, v[0:1]
	v_add_nc_u32_e32 v0, 0x3fc, v68
	s_delay_alu instid0(VALU_DEP_1) | instskip(SKIP_1) | instid1(VALU_DEP_4)
	v_lshlrev_b64 v[34:35], 4, v[0:1]
	v_add_nc_u32_e32 v0, 0x462, v68
	v_add_co_u32 v30, vcc_lo, v37, v30
	v_add_co_ci_u32_e32 v31, vcc_lo, v38, v31, vcc_lo
	s_delay_alu instid0(VALU_DEP_3) | instskip(SKIP_2) | instid1(VALU_DEP_3)
	v_lshlrev_b64 v[0:1], 4, v[0:1]
	v_add_co_u32 v34, vcc_lo, v37, v34
	v_add_co_ci_u32_e32 v35, vcc_lo, v38, v35, vcc_lo
	v_add_co_u32 v0, vcc_lo, v37, v0
	s_delay_alu instid0(VALU_DEP_4)
	v_add_co_ci_u32_e32 v1, vcc_lo, v38, v1, vcc_lo
	s_waitcnt lgkmcnt(5)
	global_store_b128 v[26:27], v[2:5], off
	s_waitcnt lgkmcnt(4)
	global_store_b128 v[28:29], v[6:9], off
	;; [unrolled: 2-line block ×6, first 2 shown]
.LBB0_21:
	s_nop 0
	s_sendmsg sendmsg(MSG_DEALLOC_VGPRS)
	s_endpgm
	.section	.rodata,"a",@progbits
	.p2align	6, 0x0
	.amdhsa_kernel fft_rtc_back_len1224_factors_17_3_4_6_wgs_204_tpt_102_halfLds_dp_ip_CI_unitstride_sbrr_C2R_dirReg
		.amdhsa_group_segment_fixed_size 0
		.amdhsa_private_segment_fixed_size 0
		.amdhsa_kernarg_size 88
		.amdhsa_user_sgpr_count 15
		.amdhsa_user_sgpr_dispatch_ptr 0
		.amdhsa_user_sgpr_queue_ptr 0
		.amdhsa_user_sgpr_kernarg_segment_ptr 1
		.amdhsa_user_sgpr_dispatch_id 0
		.amdhsa_user_sgpr_private_segment_size 0
		.amdhsa_wavefront_size32 1
		.amdhsa_uses_dynamic_stack 0
		.amdhsa_enable_private_segment 0
		.amdhsa_system_sgpr_workgroup_id_x 1
		.amdhsa_system_sgpr_workgroup_id_y 0
		.amdhsa_system_sgpr_workgroup_id_z 0
		.amdhsa_system_sgpr_workgroup_info 0
		.amdhsa_system_vgpr_workitem_id 0
		.amdhsa_next_free_vgpr 256
		.amdhsa_next_free_sgpr 54
		.amdhsa_reserve_vcc 1
		.amdhsa_float_round_mode_32 0
		.amdhsa_float_round_mode_16_64 0
		.amdhsa_float_denorm_mode_32 3
		.amdhsa_float_denorm_mode_16_64 3
		.amdhsa_dx10_clamp 1
		.amdhsa_ieee_mode 1
		.amdhsa_fp16_overflow 0
		.amdhsa_workgroup_processor_mode 1
		.amdhsa_memory_ordered 1
		.amdhsa_forward_progress 0
		.amdhsa_shared_vgpr_count 0
		.amdhsa_exception_fp_ieee_invalid_op 0
		.amdhsa_exception_fp_denorm_src 0
		.amdhsa_exception_fp_ieee_div_zero 0
		.amdhsa_exception_fp_ieee_overflow 0
		.amdhsa_exception_fp_ieee_underflow 0
		.amdhsa_exception_fp_ieee_inexact 0
		.amdhsa_exception_int_div_zero 0
	.end_amdhsa_kernel
	.text
.Lfunc_end0:
	.size	fft_rtc_back_len1224_factors_17_3_4_6_wgs_204_tpt_102_halfLds_dp_ip_CI_unitstride_sbrr_C2R_dirReg, .Lfunc_end0-fft_rtc_back_len1224_factors_17_3_4_6_wgs_204_tpt_102_halfLds_dp_ip_CI_unitstride_sbrr_C2R_dirReg
                                        ; -- End function
	.section	.AMDGPU.csdata,"",@progbits
; Kernel info:
; codeLenInByte = 14236
; NumSgprs: 56
; NumVgprs: 256
; ScratchSize: 0
; MemoryBound: 0
; FloatMode: 240
; IeeeMode: 1
; LDSByteSize: 0 bytes/workgroup (compile time only)
; SGPRBlocks: 6
; VGPRBlocks: 31
; NumSGPRsForWavesPerEU: 56
; NumVGPRsForWavesPerEU: 256
; Occupancy: 5
; WaveLimiterHint : 1
; COMPUTE_PGM_RSRC2:SCRATCH_EN: 0
; COMPUTE_PGM_RSRC2:USER_SGPR: 15
; COMPUTE_PGM_RSRC2:TRAP_HANDLER: 0
; COMPUTE_PGM_RSRC2:TGID_X_EN: 1
; COMPUTE_PGM_RSRC2:TGID_Y_EN: 0
; COMPUTE_PGM_RSRC2:TGID_Z_EN: 0
; COMPUTE_PGM_RSRC2:TIDIG_COMP_CNT: 0
	.text
	.p2alignl 7, 3214868480
	.fill 96, 4, 3214868480
	.type	__hip_cuid_a1dff216da3a91af,@object ; @__hip_cuid_a1dff216da3a91af
	.section	.bss,"aw",@nobits
	.globl	__hip_cuid_a1dff216da3a91af
__hip_cuid_a1dff216da3a91af:
	.byte	0                               ; 0x0
	.size	__hip_cuid_a1dff216da3a91af, 1

	.ident	"AMD clang version 19.0.0git (https://github.com/RadeonOpenCompute/llvm-project roc-6.4.0 25133 c7fe45cf4b819c5991fe208aaa96edf142730f1d)"
	.section	".note.GNU-stack","",@progbits
	.addrsig
	.addrsig_sym __hip_cuid_a1dff216da3a91af
	.amdgpu_metadata
---
amdhsa.kernels:
  - .args:
      - .actual_access:  read_only
        .address_space:  global
        .offset:         0
        .size:           8
        .value_kind:     global_buffer
      - .offset:         8
        .size:           8
        .value_kind:     by_value
      - .actual_access:  read_only
        .address_space:  global
        .offset:         16
        .size:           8
        .value_kind:     global_buffer
      - .actual_access:  read_only
        .address_space:  global
        .offset:         24
        .size:           8
        .value_kind:     global_buffer
      - .offset:         32
        .size:           8
        .value_kind:     by_value
      - .actual_access:  read_only
        .address_space:  global
        .offset:         40
        .size:           8
        .value_kind:     global_buffer
      - .actual_access:  read_only
        .address_space:  global
        .offset:         48
        .size:           8
        .value_kind:     global_buffer
      - .offset:         56
        .size:           4
        .value_kind:     by_value
      - .actual_access:  read_only
        .address_space:  global
        .offset:         64
        .size:           8
        .value_kind:     global_buffer
      - .actual_access:  read_only
        .address_space:  global
        .offset:         72
        .size:           8
        .value_kind:     global_buffer
      - .address_space:  global
        .offset:         80
        .size:           8
        .value_kind:     global_buffer
    .group_segment_fixed_size: 0
    .kernarg_segment_align: 8
    .kernarg_segment_size: 88
    .language:       OpenCL C
    .language_version:
      - 2
      - 0
    .max_flat_workgroup_size: 204
    .name:           fft_rtc_back_len1224_factors_17_3_4_6_wgs_204_tpt_102_halfLds_dp_ip_CI_unitstride_sbrr_C2R_dirReg
    .private_segment_fixed_size: 0
    .sgpr_count:     56
    .sgpr_spill_count: 0
    .symbol:         fft_rtc_back_len1224_factors_17_3_4_6_wgs_204_tpt_102_halfLds_dp_ip_CI_unitstride_sbrr_C2R_dirReg.kd
    .uniform_work_group_size: 1
    .uses_dynamic_stack: false
    .vgpr_count:     256
    .vgpr_spill_count: 0
    .wavefront_size: 32
    .workgroup_processor_mode: 1
amdhsa.target:   amdgcn-amd-amdhsa--gfx1100
amdhsa.version:
  - 1
  - 2
...

	.end_amdgpu_metadata
